;; amdgpu-corpus repo=ROCm/rocFFT kind=compiled arch=gfx1030 opt=O3
	.text
	.amdgcn_target "amdgcn-amd-amdhsa--gfx1030"
	.amdhsa_code_object_version 6
	.protected	bluestein_single_fwd_len1001_dim1_dp_op_CI_CI ; -- Begin function bluestein_single_fwd_len1001_dim1_dp_op_CI_CI
	.globl	bluestein_single_fwd_len1001_dim1_dp_op_CI_CI
	.p2align	8
	.type	bluestein_single_fwd_len1001_dim1_dp_op_CI_CI,@function
bluestein_single_fwd_len1001_dim1_dp_op_CI_CI: ; @bluestein_single_fwd_len1001_dim1_dp_op_CI_CI
; %bb.0:
	v_mul_u32_u24_e32 v1, 0x2d1, v0
	s_mov_b64 s[50:51], s[2:3]
	s_mov_b64 s[48:49], s[0:1]
	s_load_dwordx4 s[0:3], s[4:5], 0x28
	s_add_u32 s48, s48, s7
	v_lshrrev_b32_e32 v1, 16, v1
	s_addc_u32 s49, s49, 0
	v_mov_b32_e32 v4, 0
	v_lshl_add_u32 v3, s6, 1, v1
	v_mov_b32_e32 v2, v3
	buffer_store_dword v2, off, s[48:51], 0 ; 4-byte Folded Spill
	buffer_store_dword v3, off, s[48:51], 0 offset:4 ; 4-byte Folded Spill
	s_waitcnt lgkmcnt(0)
	v_cmp_gt_u64_e32 vcc_lo, s[0:1], v[3:4]
	s_and_saveexec_b32 s0, vcc_lo
	s_cbranch_execz .LBB0_23
; %bb.1:
	v_mul_lo_u16 v2, 0x5b, v1
	s_clause 0x1
	s_load_dwordx2 s[14:15], s[4:5], 0x0
	s_load_dwordx2 s[12:13], s[4:5], 0x38
	v_and_b32_e32 v1, 1, v1
	v_sub_nc_u16 v0, v0, v2
	v_cmp_eq_u32_e32 vcc_lo, 1, v1
	v_and_b32_e32 v254, 0xffff, v0
	v_cndmask_b32_e64 v245, 0, 0x3e9, vcc_lo
	v_cmp_gt_u16_e32 vcc_lo, 0x4d, v0
	v_lshlrev_b32_e32 v0, 4, v254
	v_lshlrev_b32_e32 v255, 4, v245
	buffer_store_dword v0, off, s[48:51], 0 offset:24 ; 4-byte Folded Spill
	s_and_saveexec_b32 s1, vcc_lo
	s_cbranch_execz .LBB0_3
; %bb.2:
	s_load_dwordx2 s[6:7], s[4:5], 0x18
	v_lshlrev_b32_e32 v122, 4, v254
	s_waitcnt lgkmcnt(0)
	v_add_co_u32 v14, s0, s14, v122
	v_add_co_ci_u32_e64 v15, null, s15, 0, s0
	v_add_co_u32 v12, s0, 0x800, v14
	v_add_co_ci_u32_e64 v13, s0, 0, v15, s0
	v_add_co_u32 v16, s0, 0x1000, v14
	v_add_co_ci_u32_e64 v17, s0, 0, v15, s0
	v_add_co_u32 v24, s0, 0x1800, v14
	s_load_dwordx4 s[8:11], s[6:7], 0x0
	s_clause 0x1
	global_load_dwordx4 v[0:3], v122, s[14:15]
	global_load_dwordx4 v[4:7], v122, s[14:15] offset:1232
	s_clause 0x1
	buffer_load_dword v8, off, s[48:51], 0
	buffer_load_dword v9, off, s[48:51], 0 offset:4
	v_add_co_ci_u32_e64 v25, s0, 0, v15, s0
	v_add_co_u32 v32, s0, 0x2000, v14
	v_add_co_ci_u32_e64 v33, s0, 0, v15, s0
	v_add_co_u32 v36, s0, 0x2800, v14
	;; [unrolled: 2-line block ×4, first 2 shown]
	v_add_co_ci_u32_e64 v97, s0, 0, v15, s0
	s_waitcnt lgkmcnt(0)
	v_mad_u64_u32 v[28:29], null, s8, v254, 0
	s_mul_i32 s6, s9, 0x4d0
	s_mul_hi_u32 s7, s8, 0x4d0
	s_add_i32 s7, s7, s6
	s_waitcnt vmcnt(0)
	v_mov_b32_e32 v9, v29
	v_mov_b32_e32 v10, v8
	v_mad_u64_u32 v[20:21], null, s10, v10, 0
	v_mov_b32_e32 v8, v21
	v_mad_u64_u32 v[10:11], null, s11, v10, v[8:9]
	v_mad_u64_u32 v[22:23], null, s9, v254, v[9:10]
	v_mov_b32_e32 v21, v10
	s_clause 0x2
	global_load_dwordx4 v[8:11], v[12:13], off offset:416
	global_load_dwordx4 v[12:15], v[12:13], off offset:1648
	;; [unrolled: 1-line block ×3, first 2 shown]
	v_lshlrev_b64 v[30:31], 4, v[20:21]
	v_mov_b32_e32 v29, v22
	s_clause 0x1
	global_load_dwordx4 v[20:23], v[24:25], off offset:16
	global_load_dwordx4 v[24:27], v[24:25], off offset:1248
	v_lshlrev_b64 v[28:29], 4, v[28:29]
	v_add_co_u32 v30, s0, s2, v30
	v_add_co_ci_u32_e64 v31, s0, s3, v31, s0
	s_mul_i32 s2, s8, 0x4d0
	v_add_co_u32 v40, s0, v30, v28
	v_add_co_ci_u32_e64 v41, s0, v31, v29, s0
	s_clause 0x1
	global_load_dwordx4 v[28:31], v[32:33], off offset:432
	global_load_dwordx4 v[32:35], v[32:33], off offset:1664
	v_add_co_u32 v44, s0, v40, s2
	v_add_co_ci_u32_e64 v45, s0, s7, v41, s0
	global_load_dwordx4 v[36:39], v[36:37], off offset:848
	v_add_co_u32 v48, s0, v44, s2
	v_add_co_ci_u32_e64 v49, s0, s7, v45, s0
	s_clause 0x1
	global_load_dwordx4 v[40:43], v[40:41], off
	global_load_dwordx4 v[44:47], v[44:45], off
	v_add_co_u32 v52, s0, v48, s2
	v_add_co_ci_u32_e64 v53, s0, s7, v49, s0
	global_load_dwordx4 v[48:51], v[48:49], off
	v_add_co_u32 v56, s0, v52, s2
	v_add_co_ci_u32_e64 v57, s0, s7, v53, s0
	v_add_co_u32 v60, s0, v56, s2
	v_add_co_ci_u32_e64 v61, s0, s7, v57, s0
	s_clause 0x1
	global_load_dwordx4 v[52:55], v[52:53], off
	global_load_dwordx4 v[56:59], v[56:57], off
	v_add_co_u32 v64, s0, v60, s2
	v_add_co_ci_u32_e64 v65, s0, s7, v61, s0
	global_load_dwordx4 v[60:63], v[60:61], off
	v_add_co_u32 v68, s0, v64, s2
	v_add_co_ci_u32_e64 v69, s0, s7, v65, s0
	;; [unrolled: 3-line block ×7, first 2 shown]
	s_clause 0x1
	global_load_dwordx4 v[84:87], v[88:89], off offset:32
	global_load_dwordx4 v[88:91], v[88:89], off offset:1264
	global_load_dwordx4 v[92:95], v[92:93], off
	global_load_dwordx4 v[96:99], v[96:97], off offset:448
	global_load_dwordx4 v[100:103], v[100:101], off
	s_waitcnt vmcnt(15)
	v_mul_f64 v[104:105], v[42:43], v[2:3]
	v_mul_f64 v[2:3], v[40:41], v[2:3]
	s_waitcnt vmcnt(14)
	v_mul_f64 v[106:107], v[46:47], v[6:7]
	v_mul_f64 v[6:7], v[44:45], v[6:7]
	s_waitcnt vmcnt(13)
	v_mul_f64 v[108:109], v[50:51], v[10:11]
	v_mul_f64 v[10:11], v[48:49], v[10:11]
	s_waitcnt vmcnt(12)
	v_mul_f64 v[110:111], v[54:55], v[14:15]
	v_mul_f64 v[14:15], v[52:53], v[14:15]
	s_waitcnt vmcnt(11)
	v_mul_f64 v[112:113], v[58:59], v[18:19]
	v_mul_f64 v[18:19], v[56:57], v[18:19]
	v_fma_f64 v[40:41], v[40:41], v[0:1], v[104:105]
	s_waitcnt vmcnt(10)
	v_mul_f64 v[104:105], v[62:63], v[22:23]
	v_mul_f64 v[22:23], v[60:61], v[22:23]
	v_fma_f64 v[42:43], v[42:43], v[0:1], -v[2:3]
	v_fma_f64 v[0:1], v[44:45], v[4:5], v[106:107]
	s_waitcnt vmcnt(9)
	v_mul_f64 v[44:45], v[66:67], v[26:27]
	v_mul_f64 v[26:27], v[64:65], v[26:27]
	v_fma_f64 v[2:3], v[46:47], v[4:5], -v[6:7]
	;; [unrolled: 5-line block ×3, first 2 shown]
	s_waitcnt vmcnt(7)
	v_mul_f64 v[106:107], v[74:75], v[34:35]
	v_mul_f64 v[34:35], v[72:73], v[34:35]
	v_fma_f64 v[8:9], v[52:53], v[12:13], v[110:111]
	v_fma_f64 v[10:11], v[54:55], v[12:13], -v[14:15]
	v_fma_f64 v[12:13], v[56:57], v[16:17], v[112:113]
	s_waitcnt vmcnt(6)
	v_mul_f64 v[114:115], v[78:79], v[38:39]
	v_mul_f64 v[38:39], v[76:77], v[38:39]
	v_fma_f64 v[14:15], v[58:59], v[16:17], -v[18:19]
	v_lshl_add_u32 v52, v254, 4, v255
	v_fma_f64 v[16:17], v[60:61], v[20:21], v[104:105]
	v_fma_f64 v[18:19], v[62:63], v[20:21], -v[22:23]
	s_waitcnt vmcnt(4)
	v_mul_f64 v[116:117], v[82:83], v[86:87]
	v_mul_f64 v[86:87], v[80:81], v[86:87]
	s_waitcnt vmcnt(2)
	v_mul_f64 v[118:119], v[94:95], v[90:91]
	v_mul_f64 v[90:91], v[92:93], v[90:91]
	;; [unrolled: 3-line block ×3, first 2 shown]
	v_fma_f64 v[20:21], v[64:65], v[24:25], v[44:45]
	v_fma_f64 v[22:23], v[66:67], v[24:25], -v[26:27]
	v_fma_f64 v[24:25], v[68:69], v[28:29], v[46:47]
	v_fma_f64 v[26:27], v[70:71], v[28:29], -v[30:31]
	v_add_nc_u32_e32 v53, v255, v122
	v_fma_f64 v[28:29], v[72:73], v[32:33], v[106:107]
	v_fma_f64 v[30:31], v[74:75], v[32:33], -v[34:35]
	v_fma_f64 v[32:33], v[76:77], v[36:37], v[114:115]
	v_fma_f64 v[34:35], v[78:79], v[36:37], -v[38:39]
	;; [unrolled: 2-line block ×5, first 2 shown]
	ds_write_b128 v52, v[40:43]
	ds_write_b128 v53, v[0:3] offset:1232
	ds_write_b128 v53, v[4:7] offset:2464
	;; [unrolled: 1-line block ×12, first 2 shown]
.LBB0_3:
	s_or_b32 exec_lo, exec_lo, s1
	s_waitcnt lgkmcnt(0)
	s_waitcnt_vscnt null, 0x0
	s_barrier
	buffer_gl0_inv
                                        ; implicit-def: $vgpr8_vgpr9
                                        ; implicit-def: $vgpr52_vgpr53
                                        ; implicit-def: $vgpr60_vgpr61
                                        ; implicit-def: $vgpr64_vgpr65
                                        ; implicit-def: $vgpr68_vgpr69
                                        ; implicit-def: $vgpr72_vgpr73
                                        ; implicit-def: $vgpr56_vgpr57
                                        ; implicit-def: $vgpr48_vgpr49
                                        ; implicit-def: $vgpr20_vgpr21
                                        ; implicit-def: $vgpr16_vgpr17
                                        ; implicit-def: $vgpr12_vgpr13
                                        ; implicit-def: $vgpr4_vgpr5
                                        ; implicit-def: $vgpr0_vgpr1
	s_and_saveexec_b32 s0, vcc_lo
	s_cbranch_execz .LBB0_5
; %bb.4:
	v_lshlrev_b32_e32 v0, 4, v254
	v_lshl_add_u32 v0, v245, 4, v0
	ds_read_b128 v[8:11], v0
	ds_read_b128 v[52:55], v0 offset:1232
	ds_read_b128 v[60:63], v0 offset:2464
	;; [unrolled: 1-line block ×12, first 2 shown]
.LBB0_5:
	s_or_b32 exec_lo, exec_lo, s0
	s_waitcnt lgkmcnt(0)
	v_add_f64 v[26:27], v[54:55], -v[2:3]
	v_add_f64 v[24:25], v[52:53], -v[0:1]
	s_mov_b32 s6, 0x42a4c3d2
	s_mov_b32 s3, 0xbfddbe06
	;; [unrolled: 1-line block ×4, first 2 shown]
	v_add_f64 v[80:81], v[52:53], v[0:1]
	v_add_f64 v[82:83], v[54:55], v[2:3]
	v_add_f64 v[46:47], v[62:63], -v[6:7]
	v_add_f64 v[44:45], v[60:61], -v[4:5]
	s_mov_b32 s0, 0xe00740e9
	s_mov_b32 s8, 0x1ea71119
	;; [unrolled: 1-line block ×6, first 2 shown]
	v_add_f64 v[76:77], v[60:61], v[4:5]
	v_add_f64 v[78:79], v[62:63], v[6:7]
	v_add_f64 v[225:226], v[66:67], -v[14:15]
	v_add_f64 v[227:228], v[64:65], -v[12:13]
	s_mov_b32 s24, 0x66966769
	s_mov_b32 s16, 0xb2365da1
	v_mul_f64 v[100:101], v[26:27], s[2:3]
	v_mul_f64 v[110:111], v[24:25], s[2:3]
	;; [unrolled: 1-line block ×4, first 2 shown]
	s_mov_b32 s30, 0x4bc48dbf
	s_mov_b32 s25, 0xbfefc445
	;; [unrolled: 1-line block ×4, first 2 shown]
	v_mul_f64 v[108:109], v[46:47], s[6:7]
	v_mul_f64 v[112:113], v[44:45], s[6:7]
	;; [unrolled: 1-line block ×4, first 2 shown]
	v_add_f64 v[84:85], v[64:65], v[12:13]
	v_add_f64 v[86:87], v[66:67], v[14:15]
	v_add_f64 v[231:232], v[68:69], -v[16:17]
	v_add_f64 v[229:230], v[70:71], -v[18:19]
	v_mul_f64 v[171:172], v[26:27], s[24:25]
	v_mul_f64 v[179:180], v[24:25], s[24:25]
	;; [unrolled: 1-line block ×6, first 2 shown]
	v_fma_f64 v[28:29], v[80:81], s[0:1], v[100:101]
	v_fma_f64 v[30:31], v[82:83], s[0:1], -v[110:111]
	v_fma_f64 v[32:33], v[80:81], s[8:9], v[116:117]
	v_fma_f64 v[34:35], v[82:83], s[8:9], -v[120:121]
	s_mov_b32 s10, 0xebaa3ed8
	s_mov_b32 s26, 0x24c2f84
	;; [unrolled: 1-line block ×4, first 2 shown]
	v_fma_f64 v[36:37], v[76:77], s[8:9], v[108:109]
	v_fma_f64 v[38:39], v[78:79], s[8:9], -v[112:113]
	v_fma_f64 v[40:41], v[76:77], s[16:17], v[104:105]
	v_fma_f64 v[42:43], v[78:79], s[16:17], -v[106:107]
	s_mov_b32 s27, 0xbfe5384d
	s_mov_b32 s21, 0xbfef11f4
	;; [unrolled: 1-line block ×4, first 2 shown]
	v_add_f64 v[88:89], v[68:69], v[16:17]
	v_add_f64 v[90:91], v[70:71], v[18:19]
	v_add_f64 v[235:236], v[72:73], -v[20:21]
	v_add_f64 v[237:238], v[74:75], -v[22:23]
	v_mul_f64 v[128:129], v[229:230], s[22:23]
	v_mul_f64 v[142:143], v[231:232], s[22:23]
	v_add_f64 v[28:29], v[8:9], v[28:29]
	v_add_f64 v[30:31], v[10:11], v[30:31]
	;; [unrolled: 1-line block ×4, first 2 shown]
	v_mul_f64 v[118:119], v[46:47], s[30:31]
	v_mul_f64 v[124:125], v[44:45], s[30:31]
	v_fma_f64 v[130:131], v[84:85], s[10:11], v[114:115]
	v_fma_f64 v[134:135], v[80:81], s[10:11], v[171:172]
	v_fma_f64 v[140:141], v[82:83], s[10:11], -v[179:180]
	v_mul_f64 v[132:133], v[229:230], s[34:35]
	v_mul_f64 v[209:210], v[26:27], s[22:23]
	;; [unrolled: 1-line block ×4, first 2 shown]
	v_fma_f64 v[154:155], v[84:85], s[20:21], v[122:123]
	s_mov_b32 s18, 0xd0032e0c
	s_mov_b32 s19, 0xbfe7f3cc
	;; [unrolled: 1-line block ×6, first 2 shown]
	v_add_f64 v[96:97], v[72:73], v[20:21]
	v_add_f64 v[98:99], v[74:75], v[22:23]
	;; [unrolled: 1-line block ×3, first 2 shown]
	v_fma_f64 v[36:37], v[86:87], s[10:11], -v[136:137]
	v_add_f64 v[30:31], v[38:39], v[30:31]
	v_fma_f64 v[38:39], v[86:87], s[20:21], -v[126:127]
	v_add_f64 v[32:33], v[40:41], v[32:33]
	v_add_f64 v[34:35], v[42:43], v[34:35]
	v_mul_f64 v[138:139], v[237:238], s[26:27]
	v_mul_f64 v[148:149], v[235:236], s[26:27]
	;; [unrolled: 1-line block ×5, first 2 shown]
	v_fma_f64 v[40:41], v[88:89], s[16:17], v[128:129]
	v_fma_f64 v[42:43], v[76:77], s[20:21], v[118:119]
	v_fma_f64 v[158:159], v[78:79], s[20:21], -v[124:125]
	v_add_f64 v[134:135], v[8:9], v[134:135]
	v_add_f64 v[166:167], v[10:11], v[140:141]
	v_mul_f64 v[164:165], v[235:236], s[28:29]
	v_mul_f64 v[140:141], v[46:47], s[34:35]
	;; [unrolled: 1-line block ×3, first 2 shown]
	v_fma_f64 v[168:169], v[82:83], s[16:17], -v[213:214]
	v_mul_f64 v[217:218], v[26:27], s[26:27]
	v_fma_f64 v[181:182], v[90:91], s[16:17], -v[142:143]
	v_add_f64 v[28:29], v[130:131], v[28:29]
	v_fma_f64 v[130:131], v[80:81], s[16:17], v[209:210]
	v_fma_f64 v[183:184], v[88:89], s[18:19], v[132:133]
	v_add_f64 v[30:31], v[36:37], v[30:31]
	v_fma_f64 v[36:37], v[90:91], s[18:19], -v[160:161]
	v_add_f64 v[32:33], v[154:155], v[32:33]
	v_add_f64 v[34:35], v[38:39], v[34:35]
	v_mul_f64 v[219:220], v[24:25], s[26:27]
	s_mov_b32 s3, 0x3fddbe06
	v_add_f64 v[239:240], v[56:57], -v[48:49]
	v_add_f64 v[246:247], v[58:59], -v[50:51]
	v_mul_f64 v[162:163], v[46:47], s[28:29]
	v_mul_f64 v[173:174], v[44:45], s[28:29]
	v_fma_f64 v[38:39], v[96:97], s[18:19], v[138:139]
	v_fma_f64 v[154:155], v[84:85], s[16:17], v[150:151]
	v_fma_f64 v[185:186], v[86:87], s[16:17], -v[156:157]
	v_add_f64 v[42:43], v[42:43], v[134:135]
	v_add_f64 v[158:159], v[158:159], v[166:167]
	v_mul_f64 v[193:194], v[229:230], s[2:3]
	v_mul_f64 v[195:196], v[231:232], s[2:3]
	v_fma_f64 v[166:167], v[78:79], s[18:19], -v[146:147]
	v_add_f64 v[168:169], v[10:11], v[168:169]
	v_add_f64 v[28:29], v[40:41], v[28:29]
	v_fma_f64 v[40:41], v[76:77], s[18:19], v[140:141]
	v_add_f64 v[187:188], v[8:9], v[130:131]
	v_mul_f64 v[175:176], v[225:226], s[2:3]
	v_mul_f64 v[177:178], v[227:228], s[2:3]
	v_fma_f64 v[189:190], v[98:99], s[18:19], -v[148:149]
	v_fma_f64 v[191:192], v[96:97], s[10:11], v[152:153]
	v_add_f64 v[30:31], v[181:182], v[30:31]
	v_fma_f64 v[181:182], v[98:99], s[10:11], -v[164:165]
	v_add_f64 v[32:33], v[183:184], v[32:33]
	v_add_f64 v[34:35], v[36:37], v[34:35]
	v_fma_f64 v[36:37], v[80:81], s[18:19], v[217:218]
	v_fma_f64 v[197:198], v[82:83], s[18:19], -v[219:220]
	v_add_f64 v[92:93], v[56:57], v[48:49]
	v_add_f64 v[94:95], v[58:59], v[50:51]
	v_mul_f64 v[102:103], v[246:247], s[30:31]
	v_mul_f64 v[144:145], v[239:240], s[30:31]
	;; [unrolled: 1-line block ×4, first 2 shown]
	v_add_f64 v[42:43], v[154:155], v[42:43]
	v_add_f64 v[154:155], v[185:186], v[158:159]
	v_fma_f64 v[158:159], v[90:91], s[0:1], -v[195:196]
	v_add_f64 v[28:29], v[38:39], v[28:29]
	v_fma_f64 v[38:39], v[88:89], s[0:1], v[193:194]
	v_mul_f64 v[199:200], v[237:238], s[6:7]
	v_mul_f64 v[203:204], v[235:236], s[6:7]
	v_add_f64 v[40:41], v[40:41], v[187:188]
	v_add_f64 v[166:167], v[166:167], v[168:169]
	v_fma_f64 v[168:169], v[84:85], s[0:1], v[175:176]
	v_fma_f64 v[185:186], v[86:87], s[0:1], -v[177:178]
	v_mul_f64 v[183:184], v[229:230], s[24:25]
	v_add_f64 v[30:31], v[189:190], v[30:31]
	v_mul_f64 v[187:188], v[231:232], s[24:25]
	v_add_f64 v[189:190], v[191:192], v[32:33]
	v_add_f64 v[221:222], v[181:182], v[34:35]
	;; [unrolled: 1-line block ×3, first 2 shown]
	v_fma_f64 v[34:35], v[76:77], s[10:11], v[162:163]
	v_add_f64 v[36:37], v[10:11], v[197:198]
	v_fma_f64 v[205:206], v[78:79], s[10:11], -v[173:174]
	v_mul_f64 v[197:198], v[225:226], s[6:7]
	v_mul_f64 v[201:202], v[227:228], s[6:7]
	s_mov_b32 s25, 0x3fcea1e5
	s_mov_b32 s24, s30
	v_fma_f64 v[211:212], v[92:93], s[20:21], v[102:103]
	v_fma_f64 v[215:216], v[94:95], s[20:21], -v[144:145]
	v_fma_f64 v[223:224], v[92:93], s[0:1], v[130:131]
	v_fma_f64 v[233:234], v[94:95], s[0:1], -v[134:135]
	v_add_f64 v[38:39], v[38:39], v[42:43]
	v_add_f64 v[42:43], v[158:159], v[154:155]
	v_fma_f64 v[241:242], v[96:97], s[8:9], v[199:200]
	v_fma_f64 v[243:244], v[98:99], s[8:9], -v[203:204]
	v_mul_f64 v[154:155], v[246:247], s[26:27]
	v_mul_f64 v[158:159], v[239:240], s[26:27]
	v_add_f64 v[40:41], v[168:169], v[40:41]
	v_add_f64 v[166:167], v[185:186], v[166:167]
	v_fma_f64 v[168:169], v[88:89], s[10:11], v[183:184]
	v_fma_f64 v[185:186], v[90:91], s[10:11], -v[187:188]
	v_mul_f64 v[181:182], v[237:238], s[24:25]
	v_mul_f64 v[191:192], v[235:236], s[24:25]
	;; [unrolled: 6-line block ×3, first 2 shown]
	s_mov_b32 s7, 0x3fea55e2
	v_add_f64 v[32:33], v[211:212], v[28:29]
	v_add_f64 v[34:35], v[215:216], v[30:31]
	;; [unrolled: 1-line block ×4, first 2 shown]
	v_mul_f64 v[211:212], v[237:238], s[2:3]
	v_add_f64 v[38:39], v[241:242], v[38:39]
	v_add_f64 v[42:43], v[243:244], v[42:43]
	v_fma_f64 v[189:190], v[92:93], s[18:19], v[154:155]
	v_fma_f64 v[221:222], v[94:95], s[18:19], -v[158:159]
	v_mul_f64 v[215:216], v[235:236], s[2:3]
	v_mul_f64 v[225:226], v[225:226], s[26:27]
	v_add_f64 v[40:41], v[168:169], v[40:41]
	v_add_f64 v[185:186], v[185:186], v[166:167]
	v_fma_f64 v[223:224], v[96:97], s[20:21], v[181:182]
	v_fma_f64 v[233:234], v[98:99], s[20:21], -v[191:192]
	v_mul_f64 v[166:167], v[246:247], s[6:7]
	v_mul_f64 v[169:170], v[239:240], s[6:7]
	v_add_f64 v[241:242], v[250:251], v[248:249]
	v_add_f64 v[243:244], v[252:253], v[36:37]
	v_fma_f64 v[248:249], v[88:89], s[20:21], v[205:206]
	v_fma_f64 v[250:251], v[90:91], s[20:21], -v[207:208]
	v_mul_f64 v[227:228], v[227:228], s[26:27]
	v_mul_f64 v[229:230], v[229:230], s[6:7]
	v_mul_f64 v[235:236], v[235:236], s[22:23]
	v_mul_lo_u16 v168, v254, 13
	v_add_f64 v[36:37], v[189:190], v[38:39]
	v_add_f64 v[38:39], v[221:222], v[42:43]
	v_fma_f64 v[252:253], v[98:99], s[0:1], -v[215:216]
	v_mul_f64 v[189:190], v[239:240], s[22:23]
	v_mul_f64 v[239:240], v[239:240], s[28:29]
	v_add_f64 v[40:41], v[223:224], v[40:41]
	v_add_f64 v[42:43], v[233:234], v[185:186]
	v_fma_f64 v[221:222], v[92:93], s[8:9], v[166:167]
	v_fma_f64 v[223:224], v[94:95], s[8:9], -v[169:170]
	v_mul_f64 v[185:186], v[246:247], s[22:23]
	v_add_f64 v[233:234], v[248:249], v[241:242]
	v_add_f64 v[248:249], v[250:251], v[243:244]
	v_fma_f64 v[250:251], v[96:97], s[0:1], v[211:212]
	v_mul_f64 v[241:242], v[26:27], s[30:31]
	v_mul_f64 v[243:244], v[24:25], s[30:31]
	v_add_f64 v[40:41], v[221:222], v[40:41]
	v_add_f64 v[42:43], v[223:224], v[42:43]
	v_mul_f64 v[221:222], v[46:47], s[2:3]
	v_mul_f64 v[223:224], v[44:45], s[2:3]
	v_add_f64 v[26:27], v[252:253], v[248:249]
	v_add_f64 v[24:25], v[250:251], v[233:234]
	v_fma_f64 v[233:234], v[92:93], s[16:17], v[185:186]
	v_fma_f64 v[248:249], v[94:95], s[16:17], -v[189:190]
	v_fma_f64 v[250:251], v[80:81], s[20:21], v[241:242]
	v_fma_f64 v[252:253], v[82:83], s[20:21], -v[243:244]
	v_add_f64 v[44:45], v[233:234], v[24:25]
	v_add_f64 v[46:47], v[248:249], v[26:27]
	;; [unrolled: 1-line block ×3, first 2 shown]
	v_fma_f64 v[26:27], v[76:77], s[0:1], v[221:222]
	v_add_f64 v[233:234], v[10:11], v[252:253]
	v_fma_f64 v[248:249], v[78:79], s[0:1], -v[223:224]
	v_fma_f64 v[250:251], v[86:87], s[18:19], -v[227:228]
	v_add_f64 v[24:25], v[26:27], v[24:25]
	v_add_f64 v[26:27], v[248:249], v[233:234]
	v_fma_f64 v[248:249], v[84:85], s[18:19], v[225:226]
	v_mul_f64 v[233:234], v[231:232], s[6:7]
	v_mul_f64 v[231:232], v[237:238], s[22:23]
	;; [unrolled: 1-line block ×3, first 2 shown]
	s_clause 0x1
	s_load_dwordx2 s[6:7], s[4:5], 0x20
	s_load_dwordx2 s[2:3], s[4:5], 0x8
	buffer_store_dword v168, off, s[48:51], 0 offset:48 ; 4-byte Folded Spill
	s_waitcnt lgkmcnt(0)
	s_waitcnt_vscnt null, 0x0
	s_barrier
	buffer_gl0_inv
	v_add_f64 v[26:27], v[250:251], v[26:27]
	v_add_f64 v[24:25], v[248:249], v[24:25]
	v_fma_f64 v[248:249], v[88:89], s[8:9], v[229:230]
	v_fma_f64 v[250:251], v[90:91], s[8:9], -v[233:234]
	v_fma_f64 v[246:247], v[92:93], s[10:11], v[237:238]
	v_add_f64 v[24:25], v[248:249], v[24:25]
	v_add_f64 v[26:27], v[250:251], v[26:27]
	v_fma_f64 v[248:249], v[96:97], s[16:17], v[231:232]
	v_fma_f64 v[250:251], v[98:99], s[16:17], -v[235:236]
	v_add_f64 v[24:25], v[248:249], v[24:25]
	v_add_f64 v[26:27], v[250:251], v[26:27]
	v_fma_f64 v[248:249], v[94:95], s[10:11], -v[239:240]
	v_add_f64 v[24:25], v[246:247], v[24:25]
	v_add_f64 v[26:27], v[248:249], v[26:27]
	s_and_saveexec_b32 s4, vcc_lo
	s_cbranch_execz .LBB0_7
; %bb.6:
	v_add_f64 v[52:53], v[8:9], v[52:53]
	v_add_f64 v[54:55], v[10:11], v[54:55]
	;; [unrolled: 1-line block ×4, first 2 shown]
	v_mul_f64 v[62:63], v[80:81], s[8:9]
	v_mul_f64 v[60:61], v[82:83], s[8:9]
	v_add_f64 v[52:53], v[52:53], v[64:65]
	v_add_f64 v[54:55], v[54:55], v[66:67]
	v_add_f64 v[62:63], v[62:63], -v[116:117]
	v_mul_f64 v[116:117], v[88:89], s[16:17]
	v_mul_f64 v[64:65], v[82:83], s[0:1]
	;; [unrolled: 1-line block ×3, first 2 shown]
	v_add_f64 v[60:61], v[120:121], v[60:61]
	v_mul_f64 v[120:121], v[98:99], s[18:19]
	v_add_f64 v[52:53], v[52:53], v[68:69]
	v_add_f64 v[54:55], v[54:55], v[70:71]
	;; [unrolled: 1-line block ×3, first 2 shown]
	v_add_f64 v[116:117], v[116:117], -v[128:129]
	v_mul_f64 v[128:129], v[96:97], s[18:19]
	v_add_f64 v[64:65], v[110:111], v[64:65]
	v_mul_f64 v[110:111], v[76:77], s[8:9]
	v_add_f64 v[66:67], v[66:67], -v[100:101]
	v_mul_f64 v[100:101], v[78:79], s[8:9]
	v_add_f64 v[120:121], v[148:149], v[120:121]
	v_mul_f64 v[148:149], v[78:79], s[20:21]
	v_add_f64 v[60:61], v[10:11], v[60:61]
	v_mul_f64 v[68:69], v[90:91], s[8:9]
	v_mul_f64 v[70:71], v[88:89], s[8:9]
	v_add_f64 v[52:53], v[52:53], v[72:73]
	v_add_f64 v[54:55], v[54:55], v[74:75]
	v_mul_f64 v[74:75], v[98:99], s[16:17]
	v_mul_f64 v[72:73], v[94:95], s[10:11]
	v_add_f64 v[128:129], v[128:129], -v[138:139]
	v_mul_f64 v[138:139], v[78:79], s[16:17]
	v_add_f64 v[108:109], v[110:111], -v[108:109]
	v_mul_f64 v[110:111], v[86:87], s[10:11]
	v_add_f64 v[100:101], v[112:113], v[100:101]
	v_mul_f64 v[112:113], v[84:85], s[10:11]
	v_add_f64 v[124:125], v[124:125], v[148:149]
	;; [unrolled: 2-line block ×3, first 2 shown]
	v_add_f64 v[70:71], v[70:71], -v[229:230]
	v_add_f64 v[52:53], v[52:53], v[56:57]
	v_add_f64 v[54:55], v[54:55], v[58:59]
	v_mul_f64 v[56:57], v[82:83], s[10:11]
	v_mul_f64 v[58:59], v[80:81], s[10:11]
	v_add_f64 v[74:75], v[235:236], v[74:75]
	v_add_f64 v[106:107], v[106:107], v[138:139]
	v_mul_f64 v[138:139], v[76:77], s[16:17]
	v_add_f64 v[110:111], v[136:137], v[110:111]
	v_mul_f64 v[136:137], v[94:95], s[20:21]
	v_add_f64 v[112:113], v[112:113], -v[114:115]
	v_mul_f64 v[114:115], v[90:91], s[16:17]
	v_add_f64 v[118:119], v[148:149], -v[118:119]
	v_mul_f64 v[148:149], v[86:87], s[16:17]
	v_add_f64 v[72:73], v[239:240], v[72:73]
	v_add_f64 v[48:49], v[52:53], v[48:49]
	;; [unrolled: 1-line block ×3, first 2 shown]
	v_mul_f64 v[52:53], v[82:83], s[16:17]
	v_mul_f64 v[54:55], v[80:81], s[16:17]
	v_add_f64 v[56:57], v[179:180], v[56:57]
	v_mul_f64 v[179:180], v[78:79], s[10:11]
	v_add_f64 v[58:59], v[58:59], -v[171:172]
	v_add_f64 v[104:105], v[138:139], -v[104:105]
	v_mul_f64 v[138:139], v[86:87], s[20:21]
	v_add_f64 v[136:137], v[144:145], v[136:137]
	v_mul_f64 v[144:145], v[96:97], s[10:11]
	v_add_f64 v[114:115], v[142:143], v[114:115]
	v_mul_f64 v[142:143], v[88:89], s[18:19]
	v_mul_f64 v[171:172], v[86:87], s[8:9]
	v_add_f64 v[148:149], v[156:157], v[148:149]
	v_mul_f64 v[156:157], v[88:89], s[0:1]
	v_add_f64 v[20:21], v[48:49], v[20:21]
	v_add_f64 v[22:23], v[50:51], v[22:23]
	v_mul_f64 v[48:49], v[82:83], s[18:19]
	v_mul_f64 v[50:51], v[80:81], s[18:19]
	v_add_f64 v[52:53], v[213:214], v[52:53]
	v_add_f64 v[54:55], v[54:55], -v[209:210]
	v_add_f64 v[56:57], v[10:11], v[56:57]
	v_add_f64 v[58:59], v[8:9], v[58:59]
	;; [unrolled: 1-line block ×3, first 2 shown]
	v_mul_f64 v[138:139], v[84:85], s[20:21]
	v_add_f64 v[144:145], v[144:145], -v[152:153]
	v_mul_f64 v[152:153], v[84:85], s[16:17]
	v_add_f64 v[173:174], v[173:174], v[179:180]
	v_add_f64 v[132:133], v[142:143], -v[132:133]
	v_mul_f64 v[142:143], v[98:99], s[10:11]
	v_add_f64 v[171:172], v[201:202], v[171:172]
	v_add_f64 v[156:157], v[156:157], -v[193:194]
	v_add_f64 v[16:17], v[20:21], v[16:17]
	v_mul_f64 v[20:21], v[82:83], s[20:21]
	v_add_f64 v[18:19], v[22:23], v[18:19]
	v_mul_f64 v[22:23], v[80:81], s[20:21]
	v_add_f64 v[48:49], v[219:220], v[48:49]
	v_add_f64 v[50:51], v[50:51], -v[217:218]
	v_add_f64 v[52:53], v[10:11], v[52:53]
	v_add_f64 v[54:55], v[8:9], v[54:55]
	;; [unrolled: 1-line block ×3, first 2 shown]
	v_add_f64 v[122:123], v[138:139], -v[122:123]
	v_mul_f64 v[138:139], v[90:91], s[18:19]
	v_add_f64 v[150:151], v[152:153], -v[150:151]
	v_mul_f64 v[152:153], v[90:91], s[0:1]
	v_add_f64 v[58:59], v[118:119], v[58:59]
	v_mul_f64 v[80:81], v[96:97], s[16:17]
	v_add_f64 v[142:143], v[164:165], v[142:143]
	v_mul_f64 v[164:165], v[96:97], s[8:9]
	v_mul_f64 v[82:83], v[92:93], s[10:11]
	v_add_f64 v[12:13], v[16:17], v[12:13]
	v_add_f64 v[20:21], v[243:244], v[20:21]
	v_mul_f64 v[16:17], v[78:79], s[0:1]
	v_mul_f64 v[78:79], v[78:79], s[18:19]
	v_add_f64 v[22:23], v[22:23], -v[241:242]
	v_add_f64 v[14:15], v[18:19], v[14:15]
	v_mul_f64 v[18:19], v[76:77], s[0:1]
	v_add_f64 v[48:49], v[10:11], v[48:49]
	v_add_f64 v[50:51], v[8:9], v[50:51]
	;; [unrolled: 1-line block ×4, first 2 shown]
	v_mul_f64 v[160:161], v[98:99], s[8:9]
	v_add_f64 v[152:153], v[195:196], v[152:153]
	v_add_f64 v[58:59], v[150:151], v[58:59]
	v_add_f64 v[80:81], v[80:81], -v[231:232]
	v_add_f64 v[164:165], v[164:165], -v[199:200]
	;; [unrolled: 1-line block ×3, first 2 shown]
	v_add_f64 v[20:21], v[10:11], v[20:21]
	v_add_f64 v[10:11], v[10:11], v[64:65]
	;; [unrolled: 1-line block ×3, first 2 shown]
	v_mul_f64 v[64:65], v[86:87], s[18:19]
	v_add_f64 v[78:79], v[146:147], v[78:79]
	v_mul_f64 v[146:147], v[76:77], s[18:19]
	v_add_f64 v[22:23], v[8:9], v[22:23]
	v_add_f64 v[8:9], v[8:9], v[66:67]
	v_add_f64 v[18:19], v[18:19], -v[221:222]
	v_mul_f64 v[66:67], v[84:85], s[18:19]
	v_mul_f64 v[76:77], v[76:77], s[10:11]
	v_mul_f64 v[86:87], v[86:87], s[0:1]
	v_add_f64 v[48:49], v[173:174], v[48:49]
	v_add_f64 v[160:161], v[203:204], v[160:161]
	;; [unrolled: 1-line block ×8, first 2 shown]
	v_add_f64 v[140:141], v[146:147], -v[140:141]
	v_mul_f64 v[146:147], v[84:85], s[8:9]
	v_mul_f64 v[84:85], v[84:85], s[0:1]
	v_add_f64 v[18:19], v[18:19], v[22:23]
	v_add_f64 v[66:67], v[66:67], -v[225:226]
	v_add_f64 v[76:77], v[76:77], -v[162:163]
	v_add_f64 v[8:9], v[108:109], v[8:9]
	v_add_f64 v[22:23], v[106:107], v[60:61]
	v_add_f64 v[60:61], v[104:105], v[62:63]
	v_add_f64 v[86:87], v[177:178], v[86:87]
	v_mul_f64 v[162:163], v[90:91], s[20:21]
	v_mul_f64 v[90:91], v[90:91], s[10:11]
	;; [unrolled: 1-line block ×4, first 2 shown]
	v_add_f64 v[48:49], v[171:172], v[48:49]
	v_mul_f64 v[20:21], v[96:97], s[0:1]
	v_mul_f64 v[78:79], v[94:95], s[16:17]
	v_add_f64 v[56:57], v[160:161], v[56:57]
	v_add_f64 v[10:11], v[110:111], v[10:11]
	;; [unrolled: 1-line block ×4, first 2 shown]
	v_mul_f64 v[64:65], v[96:97], s[20:21]
	v_add_f64 v[54:55], v[140:141], v[54:55]
	v_add_f64 v[146:147], v[146:147], -v[197:198]
	v_add_f64 v[84:85], v[84:85], -v[175:176]
	v_mul_f64 v[175:176], v[88:89], s[20:21]
	v_mul_f64 v[88:89], v[88:89], s[10:11]
	v_add_f64 v[50:51], v[76:77], v[50:51]
	v_add_f64 v[18:19], v[66:67], v[18:19]
	;; [unrolled: 1-line block ×8, first 2 shown]
	v_mul_f64 v[66:67], v[92:93], s[20:21]
	v_add_f64 v[62:63], v[191:192], v[62:63]
	v_mul_f64 v[76:77], v[92:93], s[18:19]
	v_add_f64 v[177:178], v[215:216], v[177:178]
	;; [unrolled: 2-line block ×3, first 2 shown]
	v_add_f64 v[20:21], v[20:21], -v[211:212]
	v_add_f64 v[16:17], v[68:69], v[16:17]
	v_mul_f64 v[68:69], v[94:95], s[0:1]
	v_add_f64 v[64:65], v[64:65], -v[181:182]
	v_add_f64 v[78:79], v[189:190], v[78:79]
	v_add_f64 v[54:55], v[84:85], v[54:55]
	v_add_f64 v[175:176], v[175:176], -v[205:206]
	v_add_f64 v[88:89], v[88:89], -v[183:184]
	v_add_f64 v[50:51], v[146:147], v[50:51]
	v_add_f64 v[18:19], v[70:71], v[18:19]
	;; [unrolled: 1-line block ×5, first 2 shown]
	v_mul_f64 v[70:71], v[92:93], s[0:1]
	v_add_f64 v[52:53], v[90:91], v[52:53]
	v_mul_f64 v[84:85], v[94:95], s[8:9]
	v_add_f64 v[48:49], v[162:163], v[48:49]
	v_add_f64 v[66:67], v[66:67], -v[102:103]
	v_add_f64 v[76:77], v[76:77], -v[154:155]
	v_add_f64 v[10:11], v[120:121], v[10:11]
	v_add_f64 v[16:17], v[74:75], v[16:17]
	v_mul_f64 v[74:75], v[94:95], s[18:19]
	v_add_f64 v[68:69], v[134:135], v[68:69]
	v_add_f64 v[54:55], v[88:89], v[54:55]
	v_add_f64 v[50:51], v[175:176], v[50:51]
	v_add_f64 v[18:19], v[80:81], v[18:19]
	v_mul_f64 v[80:81], v[92:93], s[16:17]
	v_add_f64 v[8:9], v[128:129], v[8:9]
	v_add_f64 v[22:23], v[142:143], v[22:23]
	v_add_f64 v[70:71], v[70:71], -v[130:131]
	v_add_f64 v[60:61], v[144:145], v[60:61]
	v_add_f64 v[84:85], v[169:170], v[84:85]
	;; [unrolled: 1-line block ×4, first 2 shown]
	v_add_f64 v[62:63], v[86:87], -v[166:167]
	v_add_f64 v[86:87], v[12:13], v[4:5]
	v_add_f64 v[10:11], v[136:137], v[10:11]
	;; [unrolled: 1-line block ×6, first 2 shown]
	v_add_f64 v[80:81], v[80:81], -v[185:186]
	v_add_f64 v[8:9], v[66:67], v[8:9]
	v_add_f64 v[14:15], v[68:69], v[22:23]
	;; [unrolled: 1-line block ×7, first 2 shown]
	v_mul_lo_u16 v52, v254, 13
	v_add_f64 v[22:23], v[78:79], v[48:49]
	v_add_f64 v[0:1], v[86:87], v[0:1]
	v_and_b32_e32 v52, 0xffff, v52
	v_add_f64 v[18:19], v[74:75], v[56:57]
	v_add_lshl_u32 v52, v245, v52, 4
	v_add_f64 v[48:49], v[62:63], v[54:55]
	v_add_f64 v[2:3], v[64:65], v[2:3]
	;; [unrolled: 1-line block ×3, first 2 shown]
	ds_write_b128 v52, v[24:27] offset:112
	ds_write_b128 v52, v[44:47] offset:128
	;; [unrolled: 1-line block ×11, first 2 shown]
	ds_write_b128 v52, v[0:3]
	ds_write_b128 v52, v[32:35] offset:192
.LBB0_7:
	s_or_b32 exec_lo, exec_lo, s4
	v_add_lshl_u32 v168, v245, v254, 4
	s_waitcnt lgkmcnt(0)
	s_barrier
	buffer_gl0_inv
	v_cmp_gt_u16_e64 s0, 52, v254
	ds_read_b128 v[48:51], v168
	ds_read_b128 v[92:95], v168 offset:2288
	ds_read_b128 v[88:91], v168 offset:4576
	;; [unrolled: 1-line block ×6, first 2 shown]
                                        ; implicit-def: $vgpr100_vgpr101
	s_and_saveexec_b32 s1, s0
	s_cbranch_execz .LBB0_9
; %bb.8:
	ds_read_b128 v[24:27], v168 offset:1456
	ds_read_b128 v[44:47], v168 offset:3744
	;; [unrolled: 1-line block ×7, first 2 shown]
.LBB0_9:
	s_or_b32 exec_lo, exec_lo, s1
	v_and_b32_e32 v0, 0xff, v254
	v_add_nc_u16 v1, v254, 0x5b
	v_mov_b32_e32 v3, 6
	s_mov_b32 s16, 0x37e14327
	s_mov_b32 s4, 0x36b3c0b5
	v_mul_lo_u16 v0, 0x4f, v0
	s_mov_b32 s24, 0xe976ee23
	s_mov_b32 s8, 0x429ad128
	;; [unrolled: 1-line block ×4, first 2 shown]
	v_lshrrev_b16 v128, 10, v0
	v_and_b32_e32 v0, 0xff, v1
	s_mov_b32 s25, 0xbfe11646
	s_mov_b32 s9, 0x3febfeb5
	;; [unrolled: 1-line block ×3, first 2 shown]
	v_mul_lo_u16 v2, v128, 13
	v_mul_lo_u16 v0, 0x4f, v0
	s_mov_b32 s22, 0x5476071b
	s_mov_b32 s26, 0xb247c609
	;; [unrolled: 1-line block ×3, first 2 shown]
	v_sub_nc_u16 v129, v254, v2
	v_lshrrev_b16 v2, 10, v0
	s_mov_b32 s23, 0x3fe77f67
	s_mov_b32 s19, 0xbfe77f67
	;; [unrolled: 1-line block ×3, first 2 shown]
	v_mul_u32_u24_sdwa v0, v129, v3 dst_sel:DWORD dst_unused:UNUSED_PAD src0_sel:BYTE_0 src1_sel:DWORD
	buffer_store_dword v2, off, s[48:51], 0 offset:32 ; 4-byte Folded Spill
	v_mul_lo_u16 v2, v2, 13
	s_mov_b32 s29, 0xbfd5d0dc
	s_mov_b32 s18, s22
	v_lshlrev_b32_e32 v0, 4, v0
	s_mov_b32 s28, s26
	v_sub_nc_u16 v1, v1, v2
	s_mov_b32 s20, 0x37c3f68c
	s_mov_b32 s21, 0x3fdc38aa
	s_clause 0x1
	global_load_dwordx4 v[72:75], v0, s[2:3]
	global_load_dwordx4 v[68:71], v0, s[2:3] offset:16
	buffer_store_dword v1, off, s[48:51], 0 offset:36 ; 4-byte Folded Spill
	v_mul_u32_u24_sdwa v1, v1, v3 dst_sel:DWORD dst_unused:UNUSED_PAD src0_sel:BYTE_0 src1_sel:DWORD
	s_clause 0x1
	global_load_dwordx4 v[60:63], v0, s[2:3] offset:32
	global_load_dwordx4 v[76:79], v0, s[2:3] offset:80
	v_lshlrev_b32_e32 v1, 4, v1
	s_clause 0x7
	global_load_dwordx4 v[80:83], v0, s[2:3] offset:64
	global_load_dwordx4 v[64:67], v0, s[2:3] offset:48
	global_load_dwordx4 v[138:141], v1, s[2:3]
	global_load_dwordx4 v[134:137], v1, s[2:3] offset:16
	global_load_dwordx4 v[130:133], v1, s[2:3] offset:32
	;; [unrolled: 1-line block ×5, first 2 shown]
	s_waitcnt vmcnt(11) lgkmcnt(5)
	v_mul_f64 v[0:1], v[94:95], v[74:75]
	v_mul_f64 v[2:3], v[92:93], v[74:75]
	s_waitcnt vmcnt(10) lgkmcnt(4)
	v_mul_f64 v[4:5], v[90:91], v[70:71]
	v_mul_f64 v[6:7], v[88:89], v[70:71]
	;; [unrolled: 3-line block ×3, first 2 shown]
	s_waitcnt vmcnt(6) lgkmcnt(2)
	v_mul_f64 v[20:21], v[54:55], v[66:67]
	s_waitcnt vmcnt(5)
	v_mul_f64 v[104:105], v[46:47], v[140:141]
	s_waitcnt vmcnt(4)
	v_mul_f64 v[108:109], v[42:43], v[136:137]
	v_mul_f64 v[22:23], v[52:53], v[66:67]
	s_waitcnt vmcnt(2) lgkmcnt(0)
	v_mul_f64 v[116:117], v[102:103], v[148:149]
	v_mul_f64 v[106:107], v[44:45], v[140:141]
	s_waitcnt vmcnt(0)
	v_mul_f64 v[124:125], v[34:35], v[152:153]
	v_mul_f64 v[110:111], v[40:41], v[136:137]
	;; [unrolled: 1-line block ×12, first 2 shown]
	v_fma_f64 v[0:1], v[92:93], v[72:73], -v[0:1]
	v_fma_f64 v[2:3], v[94:95], v[72:73], v[2:3]
	v_fma_f64 v[4:5], v[88:89], v[68:69], -v[4:5]
	v_fma_f64 v[6:7], v[90:91], v[68:69], v[6:7]
	v_fma_f64 v[20:21], v[52:53], v[64:65], -v[20:21]
	v_fma_f64 v[44:45], v[44:45], v[138:139], -v[104:105]
	buffer_store_dword v138, off, s[48:51], 0 offset:84 ; 4-byte Folded Spill
	buffer_store_dword v139, off, s[48:51], 0 offset:88 ; 4-byte Folded Spill
	;; [unrolled: 1-line block ×4, first 2 shown]
	v_fma_f64 v[40:41], v[40:41], v[134:135], -v[108:109]
	v_fma_f64 v[52:53], v[100:101], v[146:147], -v[116:117]
	buffer_store_dword v146, off, s[48:51], 0 offset:116 ; 4-byte Folded Spill
	buffer_store_dword v147, off, s[48:51], 0 offset:120 ; 4-byte Folded Spill
	;; [unrolled: 1-line block ×8, first 2 shown]
	v_fma_f64 v[32:33], v[32:33], v[150:151], -v[124:125]
	buffer_store_dword v150, off, s[48:51], 0 offset:132 ; 4-byte Folded Spill
	buffer_store_dword v151, off, s[48:51], 0 offset:136 ; 4-byte Folded Spill
	buffer_store_dword v152, off, s[48:51], 0 offset:140 ; 4-byte Folded Spill
	buffer_store_dword v153, off, s[48:51], 0 offset:144 ; 4-byte Folded Spill
	v_fma_f64 v[36:37], v[36:37], v[130:131], -v[112:113]
	buffer_store_dword v130, off, s[48:51], 0 offset:52 ; 4-byte Folded Spill
	buffer_store_dword v131, off, s[48:51], 0 offset:56 ; 4-byte Folded Spill
	buffer_store_dword v132, off, s[48:51], 0 offset:60 ; 4-byte Folded Spill
	buffer_store_dword v133, off, s[48:51], 0 offset:64 ; 4-byte Folded Spill
	;; [unrolled: 5-line block ×3, first 2 shown]
	v_fma_f64 v[8:9], v[56:57], v[60:61], -v[8:9]
	v_fma_f64 v[12:13], v[96:97], v[76:77], -v[12:13]
	v_fma_f64 v[14:15], v[98:99], v[76:77], v[14:15]
	v_fma_f64 v[16:17], v[84:85], v[80:81], -v[16:17]
	v_fma_f64 v[18:19], v[86:87], v[80:81], v[18:19]
	v_fma_f64 v[10:11], v[58:59], v[60:61], v[10:11]
	;; [unrolled: 1-line block ×3, first 2 shown]
	v_add_f64 v[56:57], v[0:1], v[12:13]
	v_add_f64 v[58:59], v[2:3], v[14:15]
	;; [unrolled: 1-line block ×4, first 2 shown]
	v_add_f64 v[0:1], v[0:1], -v[12:13]
	v_add_f64 v[2:3], v[2:3], -v[14:15]
	v_add_f64 v[12:13], v[8:9], v[20:21]
	v_add_f64 v[14:15], v[10:11], v[22:23]
	v_add_f64 v[4:5], v[4:5], -v[16:17]
	v_add_f64 v[6:7], v[6:7], -v[18:19]
	;; [unrolled: 1-line block ×4, first 2 shown]
	v_add_f64 v[16:17], v[44:45], v[52:53]
	v_add_f64 v[20:21], v[44:45], -v[52:53]
	v_add_f64 v[44:45], v[40:41], v[32:33]
	v_add_f64 v[32:33], v[40:41], -v[32:33]
	;; [unrolled: 2-line block ×4, first 2 shown]
	v_add_f64 v[56:57], v[56:57], -v[12:13]
	v_add_f64 v[84:85], v[12:13], -v[84:85]
	v_add_f64 v[88:89], v[8:9], v[4:5]
	v_add_f64 v[90:91], v[10:11], v[6:7]
	v_add_f64 v[92:93], v[8:9], -v[4:5]
	v_add_f64 v[94:95], v[10:11], -v[6:7]
	v_add_f64 v[96:97], v[44:45], v[16:17]
	v_add_f64 v[4:5], v[4:5], -v[0:1]
	v_add_f64 v[6:7], v[6:7], -v[2:3]
	;; [unrolled: 1-line block ×5, first 2 shown]
	v_add_f64 v[104:105], v[28:29], v[32:33]
	v_add_f64 v[108:109], v[28:29], -v[32:33]
	v_add_f64 v[112:113], v[32:33], -v[20:21]
	;; [unrolled: 1-line block ×3, first 2 shown]
	v_add_f64 v[12:13], v[12:13], v[36:37]
	v_add_f64 v[10:11], v[2:3], -v[10:11]
	v_add_f64 v[36:37], v[20:21], -v[28:29]
	v_mov_b32_e32 v28, 0x5b
	v_mul_f64 v[56:57], v[56:57], s[16:17]
	v_add_f64 v[0:1], v[88:89], v[0:1]
	v_add_f64 v[2:3], v[90:91], v[2:3]
	v_mul_f64 v[88:89], v[84:85], s[4:5]
	v_mul_f64 v[92:93], v[92:93], s[24:25]
	v_add_f64 v[40:41], v[40:41], v[96:97]
	v_mul_f64 v[94:95], v[94:95], s[24:25]
	v_mul_f64 v[96:97], v[4:5], s[8:9]
	;; [unrolled: 1-line block ×3, first 2 shown]
	v_add_f64 v[20:21], v[104:105], v[20:21]
	v_mul_f64 v[104:105], v[108:109], s[24:25]
	v_mul_f64 v[108:109], v[112:113], s[8:9]
	v_fma_f64 v[84:85], v[84:85], s[4:5], v[56:57]
	v_fma_f64 v[88:89], v[52:53], s[22:23], -v[88:89]
	v_fma_f64 v[52:53], v[52:53], s[18:19], -v[56:57]
	v_add_f64 v[24:25], v[24:25], v[40:41]
	v_fma_f64 v[56:57], v[8:9], s[26:27], v[92:93]
	v_fma_f64 v[4:5], v[4:5], s[8:9], -v[92:93]
	v_fma_f64 v[8:9], v[8:9], s[28:29], -v[96:97]
	v_fma_f64 v[92:93], v[36:37], s[26:27], v[104:105]
	v_fma_f64 v[96:97], v[112:113], s[8:9], -v[104:105]
	v_fma_f64 v[56:57], v[0:1], s[20:21], v[56:57]
	v_fma_f64 v[104:105], v[0:1], s[20:21], v[8:9]
	;; [unrolled: 1-line block ×8, first 2 shown]
	v_add_f64 v[18:19], v[46:47], v[54:55]
	v_add_f64 v[22:23], v[46:47], -v[54:55]
	v_add_f64 v[54:55], v[86:87], -v[58:59]
	v_add_f64 v[46:47], v[42:43], v[34:35]
	v_add_f64 v[34:35], v[42:43], -v[34:35]
	v_add_f64 v[42:43], v[38:39], v[30:31]
	;; [unrolled: 2-line block ×3, first 2 shown]
	v_add_f64 v[58:59], v[58:59], -v[14:15]
	v_add_f64 v[86:87], v[14:15], -v[86:87]
	v_add_f64 v[98:99], v[46:47], v[18:19]
	v_add_f64 v[102:103], v[46:47], -v[18:19]
	v_add_f64 v[18:19], v[18:19], -v[42:43]
	;; [unrolled: 1-line block ×3, first 2 shown]
	v_add_f64 v[106:107], v[30:31], v[34:35]
	v_add_f64 v[110:111], v[30:31], -v[34:35]
	v_add_f64 v[14:15], v[14:15], v[38:39]
	v_add_f64 v[33:34], v[34:35], -v[22:23]
	v_add_f64 v[38:39], v[22:23], -v[30:31]
	v_mul_f64 v[58:59], v[58:59], s[16:17]
	v_mul_f64 v[90:91], v[86:87], s[4:5]
	v_add_f64 v[29:30], v[48:49], v[12:13]
	v_mul_f64 v[48:49], v[44:45], s[4:5]
	v_fma_f64 v[44:45], v[44:45], s[4:5], v[16:17]
	v_fma_f64 v[35:36], v[36:37], s[28:29], -v[108:109]
	v_fma_f64 v[16:17], v[100:101], s[18:19], -v[16:17]
	v_add_f64 v[42:43], v[42:43], v[98:99]
	v_mul_f64 v[98:99], v[6:7], s[8:9]
	v_fma_f64 v[6:7], v[6:7], s[8:9], -v[94:95]
	v_mul_f64 v[18:19], v[18:19], s[16:17]
	v_add_f64 v[22:23], v[106:107], v[22:23]
	v_mul_f64 v[106:107], v[110:111], s[24:25]
	v_add_f64 v[31:32], v[50:51], v[14:15]
	v_mul_f64 v[110:111], v[33:34], s[8:9]
	v_mul_f64 v[50:51], v[46:47], s[4:5]
	v_fma_f64 v[86:87], v[86:87], s[4:5], v[58:59]
	v_fma_f64 v[90:91], v[54:55], s[22:23], -v[90:91]
	v_fma_f64 v[54:55], v[54:55], s[18:19], -v[58:59]
	v_fma_f64 v[58:59], v[10:11], s[26:27], v[94:95]
	v_fma_f64 v[12:13], v[12:13], s[10:11], v[29:30]
	v_fma_f64 v[48:49], v[100:101], s[22:23], -v[48:49]
	v_fma_f64 v[100:101], v[0:1], s[20:21], v[4:5]
	v_fma_f64 v[4:5], v[20:21], s[20:21], v[92:93]
	v_add_f64 v[26:27], v[26:27], v[42:43]
	v_fma_f64 v[10:11], v[10:11], s[28:29], -v[98:99]
	v_fma_f64 v[46:47], v[46:47], s[4:5], v[18:19]
	v_fma_f64 v[98:99], v[102:103], s[18:19], -v[18:19]
	v_fma_f64 v[18:19], v[20:21], s[20:21], v[96:97]
	v_fma_f64 v[94:95], v[38:39], s[26:27], v[106:107]
	;; [unrolled: 1-line block ×3, first 2 shown]
	v_fma_f64 v[37:38], v[38:39], s[28:29], -v[110:111]
	v_fma_f64 v[39:40], v[40:41], s[10:11], v[24:25]
	v_fma_f64 v[50:51], v[102:103], s[22:23], -v[50:51]
	v_fma_f64 v[33:34], v[33:34], s[8:9], -v[106:107]
	v_fma_f64 v[102:103], v[2:3], s[20:21], v[6:7]
	v_fma_f64 v[58:59], v[2:3], s[20:21], v[58:59]
	v_add_f64 v[84:85], v[84:85], v[12:13]
	v_add_f64 v[52:53], v[52:53], v[12:13]
	;; [unrolled: 1-line block ×3, first 2 shown]
	v_fma_f64 v[41:42], v[42:43], s[10:11], v[26:27]
	v_fma_f64 v[106:107], v[2:3], s[20:21], v[10:11]
	;; [unrolled: 1-line block ×3, first 2 shown]
	v_add_f64 v[86:87], v[86:87], v[14:15]
	v_add_f64 v[54:55], v[54:55], v[14:15]
	;; [unrolled: 1-line block ×5, first 2 shown]
	v_fma_f64 v[2:3], v[22:23], s[20:21], v[33:34]
	v_fma_f64 v[14:15], v[20:21], s[20:21], v[35:36]
	;; [unrolled: 1-line block ×3, first 2 shown]
	v_add_f64 v[6:7], v[48:49], v[39:40]
	v_add_f64 v[33:34], v[58:59], v[84:85]
	;; [unrolled: 1-line block ×6, first 2 shown]
	v_add_f64 v[49:50], v[52:53], -v[106:107]
	v_add_f64 v[41:42], v[88:89], -v[102:103]
	v_add_f64 v[45:46], v[102:103], v[88:89]
	v_add_f64 v[35:36], v[86:87], -v[56:57]
	v_add_f64 v[39:40], v[54:55], -v[104:105]
	v_add_f64 v[51:52], v[104:105], v[54:55]
	v_add_f64 v[53:54], v[84:85], -v[58:59]
	v_add_f64 v[55:56], v[56:57], v[86:87]
	;; [unrolled: 2-line block ×4, first 2 shown]
	v_add_f64 v[47:48], v[90:91], -v[100:101]
	v_mul_u32_u24_sdwa v57, v128, v28 dst_sel:DWORD dst_unused:UNUSED_PAD src0_sel:WORD_0 src1_sel:DWORD
	v_add_f64 v[86:87], v[4:5], v[16:17]
	v_add_f64 v[98:99], v[22:23], -v[18:19]
	v_add_f64 v[94:95], v[14:15], v[20:21]
	v_add_nc_u32_sdwa v57, v57, v129 dst_sel:DWORD dst_unused:UNUSED_PAD src0_sel:DWORD src1_sel:BYTE_0
	buffer_store_dword v84, off, s[48:51], 0 offset:8 ; 4-byte Folded Spill
	buffer_store_dword v85, off, s[48:51], 0 offset:12 ; 4-byte Folded Spill
	;; [unrolled: 1-line block ×4, first 2 shown]
	s_load_dwordx4 s[4:7], s[6:7], 0x0
	v_add_lshl_u32 v57, v245, v57, 4
	s_waitcnt lgkmcnt(0)
	s_waitcnt_vscnt null, 0x0
	s_barrier
	buffer_gl0_inv
	ds_write_b128 v57, v[29:32]
	ds_write_b128 v57, v[33:36] offset:208
	ds_write_b128 v57, v[37:40] offset:416
	;; [unrolled: 1-line block ×5, first 2 shown]
	buffer_store_dword v57, off, s[48:51], 0 offset:40 ; 4-byte Folded Spill
	ds_write_b128 v57, v[53:56] offset:1248
	s_and_saveexec_b32 s1, s0
	s_cbranch_execz .LBB0_11
; %bb.10:
	v_add_f64 v[14:15], v[20:21], -v[14:15]
	v_add_f64 v[20:21], v[0:1], v[12:13]
	s_clause 0x1
	buffer_load_dword v0, off, s[48:51], 0 offset:32
	buffer_load_dword v1, off, s[48:51], 0 offset:36
	v_add_f64 v[18:19], v[18:19], v[22:23]
	v_add_f64 v[22:23], v[16:17], -v[4:5]
	v_add_f64 v[12:13], v[8:9], v[10:11]
	v_add_f64 v[16:17], v[6:7], -v[2:3]
	s_waitcnt vmcnt(1)
	v_mul_u32_u24_sdwa v0, v0, v28 dst_sel:DWORD dst_unused:UNUSED_PAD src0_sel:WORD_0 src1_sel:DWORD
	s_waitcnt vmcnt(0)
	v_add_nc_u32_sdwa v0, v0, v1 dst_sel:DWORD dst_unused:UNUSED_PAD src0_sel:DWORD src1_sel:BYTE_0
	v_add_lshl_u32 v0, v245, v0, 4
	ds_write_b128 v0, v[24:27]
	ds_write_b128 v0, v[96:99] offset:832
	ds_write_b128 v0, v[92:95] offset:1040
	;; [unrolled: 1-line block ×5, first 2 shown]
	s_clause 0x3
	buffer_load_dword v1, off, s[48:51], 0 offset:8
	buffer_load_dword v2, off, s[48:51], 0 offset:12
	;; [unrolled: 1-line block ×4, first 2 shown]
	s_waitcnt vmcnt(0)
	ds_write_b128 v0, v[1:4] offset:1248
.LBB0_11:
	s_or_b32 exec_lo, exec_lo, s1
	v_mad_u64_u32 v[84:85], null, 0xa0, v254, s[2:3]
	s_waitcnt lgkmcnt(0)
	s_waitcnt_vscnt null, 0x0
	s_barrier
	buffer_gl0_inv
	s_mov_b32 s26, 0xf8bb580b
	s_mov_b32 s18, 0x43842ef
	s_mov_b32 s22, 0xbb3a28a1
	s_clause 0x7
	global_load_dwordx4 v[52:55], v[84:85], off offset:1248
	global_load_dwordx4 v[48:51], v[84:85], off offset:1264
	;; [unrolled: 1-line block ×8, first 2 shown]
	ds_read_b128 v[0:3], v168 offset:1456
	ds_read_b128 v[4:7], v168 offset:2912
	;; [unrolled: 1-line block ×5, first 2 shown]
	s_mov_b32 s28, 0xfd768dbf
	s_mov_b32 s27, 0xbfe14ced
	;; [unrolled: 1-line block ×23, first 2 shown]
	s_waitcnt vmcnt(7) lgkmcnt(4)
	v_mul_f64 v[20:21], v[2:3], v[54:55]
	s_waitcnt vmcnt(6) lgkmcnt(3)
	v_mul_f64 v[56:57], v[6:7], v[50:51]
	v_mul_f64 v[58:59], v[4:5], v[50:51]
	s_waitcnt vmcnt(5) lgkmcnt(2)
	v_mul_f64 v[86:87], v[10:11], v[42:43]
	v_mul_f64 v[88:89], v[8:9], v[42:43]
	;; [unrolled: 1-line block ×3, first 2 shown]
	v_fma_f64 v[0:1], v[0:1], v[52:53], -v[20:21]
	v_fma_f64 v[169:170], v[4:5], v[48:49], -v[56:57]
	v_fma_f64 v[171:172], v[6:7], v[48:49], v[58:59]
	global_load_dwordx4 v[56:59], v[84:85], off offset:1376
	v_fma_f64 v[164:165], v[8:9], v[40:41], -v[86:87]
	global_load_dwordx4 v[84:87], v[84:85], off offset:1392
	s_waitcnt vmcnt(6) lgkmcnt(1)
	v_mul_f64 v[4:5], v[14:15], v[34:35]
	v_mul_f64 v[6:7], v[12:13], v[34:35]
	v_fma_f64 v[166:167], v[10:11], v[40:41], v[88:89]
	s_waitcnt vmcnt(5) lgkmcnt(0)
	v_mul_f64 v[8:9], v[18:19], v[30:31]
	v_mul_f64 v[10:11], v[16:17], v[30:31]
	v_fma_f64 v[2:3], v[2:3], v[52:53], v[22:23]
	ds_read_b128 v[20:23], v168 offset:8736
	v_fma_f64 v[160:161], v[12:13], v[32:33], -v[4:5]
	v_fma_f64 v[162:163], v[14:15], v[32:33], v[6:7]
	ds_read_b128 v[4:7], v168 offset:10192
	v_fma_f64 v[156:157], v[16:17], v[28:29], -v[8:9]
	v_fma_f64 v[158:159], v[18:19], v[28:29], v[10:11]
	s_waitcnt vmcnt(4) lgkmcnt(1)
	v_mul_f64 v[12:13], v[22:23], v[26:27]
	v_mul_f64 v[14:15], v[20:21], v[26:27]
	s_waitcnt vmcnt(3) lgkmcnt(0)
	v_mul_f64 v[8:9], v[6:7], v[38:39]
	v_mul_f64 v[10:11], v[4:5], v[38:39]
	v_fma_f64 v[152:153], v[20:21], v[24:25], -v[12:13]
	v_fma_f64 v[154:155], v[22:23], v[24:25], v[14:15]
	v_fma_f64 v[148:149], v[4:5], v[36:37], -v[8:9]
	v_fma_f64 v[150:151], v[6:7], v[36:37], v[10:11]
	ds_read_b128 v[4:7], v168 offset:11648
	v_add_f64 v[197:198], v[156:157], v[152:153]
	v_add_f64 v[195:196], v[158:159], -v[154:155]
	v_add_f64 v[199:200], v[156:157], -v[152:153]
	v_add_f64 v[201:202], v[158:159], v[154:155]
	s_waitcnt vmcnt(2) lgkmcnt(0)
	v_mul_f64 v[8:9], v[6:7], v[46:47]
	v_add_f64 v[187:188], v[162:163], -v[150:151]
	v_add_f64 v[189:190], v[160:161], v[148:149]
	v_add_f64 v[191:192], v[160:161], -v[148:149]
	v_add_f64 v[193:194], v[162:163], v[150:151]
	v_fma_f64 v[144:145], v[4:5], v[44:45], -v[8:9]
	v_mul_f64 v[4:5], v[4:5], v[46:47]
	v_add_f64 v[181:182], v[164:165], v[144:145]
	v_fma_f64 v[146:147], v[6:7], v[44:45], v[4:5]
	ds_read_b128 v[4:7], v168 offset:13104
	v_add_f64 v[183:184], v[164:165], -v[144:145]
	v_add_f64 v[138:139], v[166:167], -v[146:147]
	v_add_f64 v[185:186], v[166:167], v[146:147]
	s_waitcnt vmcnt(1) lgkmcnt(0)
	v_mul_f64 v[8:9], v[6:7], v[58:59]
	v_fma_f64 v[140:141], v[4:5], v[56:57], -v[8:9]
	v_mul_f64 v[4:5], v[4:5], v[58:59]
	v_fma_f64 v[142:143], v[6:7], v[56:57], v[4:5]
	ds_read_b128 v[4:7], v168 offset:14560
	s_waitcnt vmcnt(0) lgkmcnt(0)
	v_mul_f64 v[8:9], v[4:5], v[86:87]
	v_fma_f64 v[173:174], v[6:7], v[84:85], v[8:9]
	v_mul_f64 v[6:7], v[6:7], v[86:87]
	v_add_f64 v[106:107], v[2:3], v[173:174]
	v_fma_f64 v[175:176], v[4:5], v[84:85], -v[6:7]
	v_add_f64 v[4:5], v[2:3], -v[173:174]
	v_add_f64 v[14:15], v[0:1], v[175:176]
	v_mul_f64 v[6:7], v[4:5], s[26:27]
	v_mul_f64 v[8:9], v[4:5], s[20:21]
	;; [unrolled: 1-line block ×5, first 2 shown]
	v_fma_f64 v[16:17], v[14:15], s[10:11], -v[6:7]
	v_fma_f64 v[18:19], v[14:15], s[10:11], v[6:7]
	v_fma_f64 v[20:21], v[14:15], s[8:9], -v[8:9]
	v_fma_f64 v[8:9], v[14:15], s[8:9], v[8:9]
	;; [unrolled: 2-line block ×5, first 2 shown]
	v_add_f64 v[4:5], v[0:1], -v[175:176]
	v_mul_f64 v[6:7], v[4:5], s[26:27]
	v_mul_f64 v[88:89], v[4:5], s[20:21]
	;; [unrolled: 1-line block ×5, first 2 shown]
	v_fma_f64 v[108:109], v[106:107], s[10:11], v[6:7]
	v_fma_f64 v[110:111], v[106:107], s[10:11], -v[6:7]
	v_fma_f64 v[112:113], v[106:107], s[8:9], v[88:89]
	v_fma_f64 v[88:89], v[106:107], s[8:9], -v[88:89]
	;; [unrolled: 2-line block ×3, first 2 shown]
	ds_read_b128 v[4:7], v168
	v_fma_f64 v[116:117], v[106:107], s[2:3], v[90:91]
	v_fma_f64 v[118:119], v[106:107], s[2:3], -v[90:91]
	v_fma_f64 v[120:121], v[106:107], s[16:17], v[104:105]
	v_fma_f64 v[122:123], v[106:107], s[16:17], -v[104:105]
	buffer_store_dword v254, off, s[48:51], 0 offset:44 ; 4-byte Folded Spill
	buffer_store_dword v255, off, s[48:51], 0 offset:28 ; 4-byte Folded Spill
	v_lshl_add_u32 v255, v254, 4, v255
	s_waitcnt lgkmcnt(0)
	v_add_f64 v[130:131], v[4:5], v[18:19]
	v_add_f64 v[18:19], v[4:5], v[12:13]
	v_add_f64 v[12:13], v[171:172], -v[142:143]
	v_add_f64 v[177:178], v[4:5], v[0:1]
	v_add_f64 v[128:129], v[4:5], v[16:17]
	;; [unrolled: 1-line block ×21, first 2 shown]
	v_mul_f64 v[100:101], v[12:13], s[20:21]
	v_add_f64 v[14:15], v[169:170], -v[140:141]
	v_mul_f64 v[118:119], v[138:139], s[18:19]
	v_mul_f64 v[120:121], v[183:184], s[18:19]
	v_mul_f64 v[122:123], v[187:188], s[22:23]
	v_mul_f64 v[124:125], v[191:192], s[22:23]
	v_mul_f64 v[126:127], v[195:196], s[28:29]
	v_fma_f64 v[6:7], v[4:5], s[8:9], -v[100:101]
	v_mul_f64 v[116:117], v[14:15], s[20:21]
	v_fma_f64 v[100:101], v[4:5], s[8:9], v[100:101]
	s_mov_b32 s21, 0x3fed1bb4
	v_add_f64 v[102:103], v[6:7], v[128:129]
	v_add_f64 v[6:7], v[171:172], v[142:143]
	;; [unrolled: 1-line block ×3, first 2 shown]
	v_fma_f64 v[110:111], v[6:7], s[8:9], v[116:117]
	v_fma_f64 v[116:117], v[6:7], s[8:9], -v[116:117]
	v_add_f64 v[108:109], v[110:111], v[108:109]
	v_fma_f64 v[110:111], v[181:182], s[2:3], -v[118:119]
	v_fma_f64 v[118:119], v[181:182], s[2:3], v[118:119]
	v_add_f64 v[116:117], v[116:117], v[132:133]
	v_add_f64 v[102:103], v[110:111], v[102:103]
	v_fma_f64 v[110:111], v[185:186], s[2:3], v[120:121]
	v_add_f64 v[100:101], v[118:119], v[100:101]
	v_fma_f64 v[118:119], v[185:186], s[2:3], -v[120:121]
	v_mul_f64 v[120:121], v[12:13], s[22:23]
	v_add_f64 v[108:109], v[110:111], v[108:109]
	v_fma_f64 v[110:111], v[189:190], s[16:17], -v[122:123]
	v_add_f64 v[116:117], v[118:119], v[116:117]
	v_fma_f64 v[118:119], v[189:190], s[16:17], v[122:123]
	v_mul_f64 v[122:123], v[14:15], s[22:23]
	v_add_f64 v[102:103], v[110:111], v[102:103]
	v_fma_f64 v[110:111], v[193:194], s[16:17], v[124:125]
	v_add_f64 v[100:101], v[118:119], v[100:101]
	v_fma_f64 v[118:119], v[193:194], s[16:17], -v[124:125]
	v_mul_f64 v[124:125], v[138:139], s[34:35]
	v_add_f64 v[110:111], v[110:111], v[108:109]
	v_fma_f64 v[108:109], v[197:198], s[24:25], -v[126:127]
	v_add_f64 v[116:117], v[118:119], v[116:117]
	v_fma_f64 v[118:119], v[197:198], s[24:25], v[126:127]
	v_fma_f64 v[126:127], v[181:182], s[24:25], -v[124:125]
	v_add_f64 v[108:109], v[108:109], v[102:103]
	v_mul_f64 v[102:103], v[199:200], s[28:29]
	v_add_f64 v[100:101], v[118:119], v[100:101]
	v_fma_f64 v[118:119], v[6:7], s[16:17], v[122:123]
	v_fma_f64 v[128:129], v[201:202], s[24:25], v[102:103]
	v_fma_f64 v[102:103], v[201:202], s[24:25], -v[102:103]
	v_add_f64 v[118:119], v[118:119], v[136:137]
	v_add_f64 v[110:111], v[128:129], v[110:111]
	;; [unrolled: 1-line block ×3, first 2 shown]
	v_fma_f64 v[116:117], v[4:5], s[16:17], -v[120:121]
	v_fma_f64 v[120:121], v[4:5], s[16:17], v[120:121]
	v_add_f64 v[116:117], v[116:117], v[134:135]
	v_add_f64 v[106:107], v[120:121], v[106:107]
	v_fma_f64 v[120:121], v[6:7], s[16:17], -v[122:123]
	v_add_f64 v[116:117], v[126:127], v[116:117]
	v_mul_f64 v[126:127], v[183:184], s[34:35]
	v_add_f64 v[104:105], v[120:121], v[104:105]
	v_fma_f64 v[120:121], v[181:182], s[24:25], v[124:125]
	v_mul_f64 v[124:125], v[12:13], s[34:35]
	v_fma_f64 v[128:129], v[185:186], s[24:25], v[126:127]
	v_add_f64 v[106:107], v[120:121], v[106:107]
	v_fma_f64 v[120:121], v[185:186], s[24:25], -v[126:127]
	v_mul_f64 v[126:127], v[14:15], s[34:35]
	v_add_f64 v[118:119], v[128:129], v[118:119]
	v_mul_f64 v[128:129], v[187:188], s[36:37]
	v_add_f64 v[104:105], v[120:121], v[104:105]
	v_fma_f64 v[130:131], v[189:190], s[2:3], -v[128:129]
	v_fma_f64 v[120:121], v[189:190], s[2:3], v[128:129]
	v_mul_f64 v[128:129], v[138:139], s[20:21]
	v_add_f64 v[116:117], v[130:131], v[116:117]
	v_mul_f64 v[130:131], v[191:192], s[36:37]
	v_add_f64 v[106:107], v[120:121], v[106:107]
	v_fma_f64 v[132:133], v[193:194], s[2:3], v[130:131]
	v_fma_f64 v[120:121], v[193:194], s[2:3], -v[130:131]
	v_mul_f64 v[130:131], v[183:184], s[20:21]
	v_add_f64 v[118:119], v[132:133], v[118:119]
	v_mul_f64 v[132:133], v[195:196], s[30:31]
	v_add_f64 v[120:121], v[120:121], v[104:105]
	v_fma_f64 v[134:135], v[197:198], s[10:11], -v[132:133]
	v_fma_f64 v[104:105], v[197:198], s[10:11], v[132:133]
	v_mul_f64 v[132:133], v[187:188], s[26:27]
	v_add_f64 v[116:117], v[134:135], v[116:117]
	v_mul_f64 v[134:135], v[199:200], s[30:31]
	v_add_f64 v[104:105], v[104:105], v[106:107]
	v_fma_f64 v[122:123], v[201:202], s[10:11], -v[134:135]
	v_fma_f64 v[136:137], v[201:202], s[10:11], v[134:135]
	v_mul_f64 v[134:135], v[191:192], s[26:27]
	v_add_f64 v[106:107], v[122:123], v[120:121]
	v_fma_f64 v[120:121], v[4:5], s[24:25], -v[124:125]
	v_add_f64 v[118:119], v[136:137], v[118:119]
	v_mul_f64 v[136:137], v[195:196], s[22:23]
	v_add_f64 v[114:115], v[120:121], v[114:115]
	v_fma_f64 v[120:121], v[6:7], s[24:25], v[126:127]
	v_add_f64 v[112:113], v[120:121], v[112:113]
	v_fma_f64 v[120:121], v[181:182], s[8:9], -v[128:129]
	v_add_f64 v[114:115], v[120:121], v[114:115]
	v_fma_f64 v[120:121], v[185:186], s[8:9], v[130:131]
	v_add_f64 v[112:113], v[120:121], v[112:113]
	v_fma_f64 v[120:121], v[189:190], s[10:11], -v[132:133]
	;; [unrolled: 4-line block ×3, first 2 shown]
	v_add_f64 v[120:121], v[120:121], v[114:115]
	v_mul_f64 v[114:115], v[199:200], s[22:23]
	v_fma_f64 v[122:123], v[201:202], s[16:17], v[114:115]
	v_fma_f64 v[114:115], v[201:202], s[16:17], -v[114:115]
	v_add_f64 v[122:123], v[122:123], v[112:113]
	v_fma_f64 v[112:113], v[4:5], s[24:25], v[124:125]
	v_add_f64 v[90:91], v[112:113], v[90:91]
	v_fma_f64 v[112:113], v[6:7], s[24:25], -v[126:127]
	v_add_f64 v[88:89], v[112:113], v[88:89]
	v_fma_f64 v[112:113], v[181:182], s[8:9], v[128:129]
	v_add_f64 v[90:91], v[112:113], v[90:91]
	v_fma_f64 v[112:113], v[185:186], s[8:9], -v[130:131]
	v_add_f64 v[88:89], v[112:113], v[88:89]
	v_fma_f64 v[112:113], v[189:190], s[10:11], v[132:133]
	v_mul_f64 v[132:133], v[187:188], s[28:29]
	v_add_f64 v[90:91], v[112:113], v[90:91]
	v_fma_f64 v[112:113], v[193:194], s[10:11], -v[134:135]
	v_mul_f64 v[134:135], v[191:192], s[28:29]
	v_add_f64 v[88:89], v[112:113], v[88:89]
	v_fma_f64 v[112:113], v[197:198], s[16:17], v[136:137]
	v_mul_f64 v[136:137], v[195:196], s[20:21]
	v_add_f64 v[114:115], v[114:115], v[88:89]
	v_mul_f64 v[88:89], v[12:13], s[36:37]
	v_add_f64 v[112:113], v[112:113], v[90:91]
	v_mul_f64 v[12:13], v[12:13], s[30:31]
	v_fma_f64 v[90:91], v[4:5], s[2:3], -v[88:89]
	v_add_f64 v[22:23], v[90:91], v[22:23]
	v_mul_f64 v[90:91], v[14:15], s[36:37]
	v_mul_f64 v[14:15], v[14:15], s[30:31]
	v_fma_f64 v[124:125], v[6:7], s[2:3], v[90:91]
	v_add_f64 v[20:21], v[124:125], v[20:21]
	v_mul_f64 v[124:125], v[138:139], s[26:27]
	v_fma_f64 v[126:127], v[181:182], s[10:11], -v[124:125]
	v_add_f64 v[22:23], v[126:127], v[22:23]
	v_mul_f64 v[126:127], v[183:184], s[26:27]
	v_fma_f64 v[128:129], v[185:186], s[10:11], v[126:127]
	v_add_f64 v[20:21], v[128:129], v[20:21]
	v_fma_f64 v[128:129], v[189:190], s[24:25], -v[132:133]
	v_add_f64 v[22:23], v[128:129], v[22:23]
	v_fma_f64 v[128:129], v[193:194], s[24:25], v[134:135]
	v_add_f64 v[20:21], v[128:129], v[20:21]
	v_fma_f64 v[128:129], v[197:198], s[8:9], -v[136:137]
	v_add_f64 v[128:129], v[128:129], v[22:23]
	v_mul_f64 v[22:23], v[199:200], s[20:21]
	v_fma_f64 v[130:131], v[201:202], s[8:9], v[22:23]
	v_fma_f64 v[22:23], v[201:202], s[8:9], -v[22:23]
	v_add_f64 v[130:131], v[130:131], v[20:21]
	v_fma_f64 v[20:21], v[4:5], s[2:3], v[88:89]
	v_add_f64 v[18:19], v[20:21], v[18:19]
	v_fma_f64 v[20:21], v[6:7], s[2:3], -v[90:91]
	v_mul_f64 v[90:91], v[199:200], s[18:19]
	v_add_f64 v[16:17], v[20:21], v[16:17]
	v_fma_f64 v[20:21], v[181:182], s[10:11], v[124:125]
	v_add_f64 v[18:19], v[20:21], v[18:19]
	v_fma_f64 v[20:21], v[185:186], s[10:11], -v[126:127]
	v_add_f64 v[16:17], v[20:21], v[16:17]
	v_fma_f64 v[20:21], v[189:190], s[24:25], v[132:133]
	v_add_f64 v[18:19], v[20:21], v[18:19]
	v_fma_f64 v[20:21], v[193:194], s[24:25], -v[134:135]
	;; [unrolled: 4-line block ×3, first 2 shown]
	v_add_f64 v[124:125], v[20:21], v[18:19]
	v_fma_f64 v[4:5], v[4:5], s[10:11], v[12:13]
	v_add_f64 v[10:11], v[16:17], v[10:11]
	v_fma_f64 v[16:17], v[6:7], s[10:11], v[14:15]
	v_fma_f64 v[6:7], v[6:7], s[10:11], -v[14:15]
	v_add_f64 v[0:1], v[4:5], v[0:1]
	v_add_f64 v[8:9], v[16:17], v[8:9]
	v_mul_f64 v[16:17], v[138:139], s[22:23]
	v_add_f64 v[2:3], v[6:7], v[2:3]
	v_fma_f64 v[18:19], v[181:182], s[16:17], -v[16:17]
	v_add_f64 v[10:11], v[18:19], v[10:11]
	v_mul_f64 v[18:19], v[183:184], s[22:23]
	v_fma_f64 v[20:21], v[185:186], s[16:17], v[18:19]
	v_add_f64 v[8:9], v[20:21], v[8:9]
	v_mul_f64 v[20:21], v[187:188], s[20:21]
	v_fma_f64 v[22:23], v[189:190], s[8:9], -v[20:21]
	v_fma_f64 v[4:5], v[189:190], s[8:9], v[20:21]
	v_add_f64 v[10:11], v[22:23], v[10:11]
	v_mul_f64 v[22:23], v[191:192], s[20:21]
	v_fma_f64 v[88:89], v[193:194], s[8:9], v[22:23]
	v_fma_f64 v[6:7], v[193:194], s[8:9], -v[22:23]
	v_add_f64 v[8:9], v[88:89], v[8:9]
	v_mul_f64 v[88:89], v[195:196], s[18:19]
	v_fma_f64 v[132:133], v[197:198], s[2:3], -v[88:89]
	v_add_f64 v[136:137], v[132:133], v[10:11]
	v_fma_f64 v[10:11], v[201:202], s[2:3], v[90:91]
	v_add_f64 v[138:139], v[10:11], v[8:9]
	v_fma_f64 v[8:9], v[181:182], s[16:17], v[16:17]
	v_fma_f64 v[10:11], v[185:186], s[16:17], -v[18:19]
	v_add_f64 v[0:1], v[8:9], v[0:1]
	v_add_f64 v[2:3], v[10:11], v[2:3]
	v_fma_f64 v[8:9], v[197:198], s[2:3], v[88:89]
	v_fma_f64 v[10:11], v[201:202], s[2:3], -v[90:91]
	v_add_f64 v[0:1], v[4:5], v[0:1]
	v_add_f64 v[2:3], v[6:7], v[2:3]
	;; [unrolled: 1-line block ×22, first 2 shown]
	ds_write_b128 v255, v[108:111] offset:1456
	ds_write_b128 v255, v[116:119] offset:2912
	ds_write_b128 v255, v[120:123] offset:4368
	ds_write_b128 v255, v[128:131] offset:5824
	ds_write_b128 v255, v[136:139] offset:7280
	ds_write_b128 v255, v[132:135] offset:8736
	ds_write_b128 v255, v[124:127] offset:10192
	ds_write_b128 v255, v[112:115] offset:11648
	ds_write_b128 v255, v[104:107] offset:13104
	ds_write_b128 v255, v[100:103] offset:14560
	ds_write_b128 v255, v[140:143]
	s_waitcnt lgkmcnt(0)
	s_waitcnt_vscnt null, 0x0
	s_barrier
	buffer_gl0_inv
	s_and_saveexec_b32 s2, vcc_lo
	s_cbranch_execz .LBB0_13
; %bb.12:
	buffer_load_dword v0, off, s[48:51], 0 offset:24 ; 4-byte Folded Reload
	s_waitcnt vmcnt(0)
	v_add_co_u32 v164, s1, s14, v0
	v_add_co_ci_u32_e64 v165, null, s15, 0, s1
	v_add_co_u32 v0, s1, 0x3800, v164
	v_add_co_ci_u32_e64 v1, s1, 0, v165, s1
	v_add_co_u32 v4, s1, 0x3e90, v164
	v_add_co_ci_u32_e64 v5, s1, 0, v165, s1
	global_load_dwordx4 v[0:3], v[0:1], off offset:1680
	v_add_co_u32 v12, s1, 0x4800, v164
	global_load_dwordx4 v[4:7], v[4:5], off offset:1232
	v_add_co_ci_u32_e64 v13, s1, 0, v165, s1
	s_clause 0x1
	global_load_dwordx4 v[8:11], v[12:13], off offset:48
	global_load_dwordx4 v[12:15], v[12:13], off offset:1280
	v_add_co_u32 v20, s1, 0x5000, v164
	v_add_co_ci_u32_e64 v21, s1, 0, v165, s1
	s_clause 0x1
	global_load_dwordx4 v[16:19], v[20:21], off offset:464
	global_load_dwordx4 v[20:23], v[20:21], off offset:1696
	v_add_co_u32 v88, s1, 0x5800, v164
	v_add_co_ci_u32_e64 v89, s1, 0, v165, s1
	v_add_co_u32 v148, s1, 0x6000, v164
	v_add_co_ci_u32_e64 v149, s1, 0, v165, s1
	s_clause 0x2
	global_load_dwordx4 v[88:91], v[88:89], off offset:880
	global_load_dwordx4 v[144:147], v[148:149], off offset:64
	;; [unrolled: 1-line block ×3, first 2 shown]
	v_add_co_u32 v156, s1, 0x6800, v164
	v_add_co_ci_u32_e64 v157, s1, 0, v165, s1
	s_clause 0x1
	global_load_dwordx4 v[152:155], v[156:157], off offset:480
	global_load_dwordx4 v[156:159], v[156:157], off offset:1712
	v_add_co_u32 v160, s1, 0x7000, v164
	v_add_co_ci_u32_e64 v161, s1, 0, v165, s1
	v_add_co_u32 v164, s1, 0x7800, v164
	v_add_co_ci_u32_e64 v165, s1, 0, v165, s1
	global_load_dwordx4 v[160:163], v[160:161], off offset:896
	ds_read_b128 v[169:172], v255
	ds_read_b128 v[173:176], v255 offset:1232
	global_load_dwordx4 v[164:167], v[164:165], off offset:80
	s_waitcnt vmcnt(12) lgkmcnt(1)
	v_mul_f64 v[177:178], v[171:172], v[2:3]
	v_mul_f64 v[2:3], v[169:170], v[2:3]
	v_fma_f64 v[169:170], v[169:170], v[0:1], -v[177:178]
	s_waitcnt vmcnt(11) lgkmcnt(0)
	v_mul_f64 v[177:178], v[175:176], v[6:7]
	v_mul_f64 v[6:7], v[173:174], v[6:7]
	v_fma_f64 v[171:172], v[171:172], v[0:1], v[2:3]
	ds_read_b128 v[0:3], v255 offset:2464
	v_fma_f64 v[173:174], v[173:174], v[4:5], -v[177:178]
	v_fma_f64 v[175:176], v[175:176], v[4:5], v[6:7]
	ds_read_b128 v[4:7], v255 offset:3696
	s_waitcnt vmcnt(10) lgkmcnt(1)
	v_mul_f64 v[177:178], v[2:3], v[10:11]
	v_mul_f64 v[10:11], v[0:1], v[10:11]
	v_fma_f64 v[0:1], v[0:1], v[8:9], -v[177:178]
	s_waitcnt vmcnt(9) lgkmcnt(0)
	v_mul_f64 v[177:178], v[6:7], v[14:15]
	v_mul_f64 v[14:15], v[4:5], v[14:15]
	v_fma_f64 v[2:3], v[2:3], v[8:9], v[10:11]
	ds_read_b128 v[8:11], v255 offset:4928
	v_fma_f64 v[4:5], v[4:5], v[12:13], -v[177:178]
	v_fma_f64 v[6:7], v[6:7], v[12:13], v[14:15]
	ds_read_b128 v[12:15], v255 offset:6160
	;; [unrolled: 12-line block ×5, first 2 shown]
	s_waitcnt vmcnt(2) lgkmcnt(1)
	v_mul_f64 v[177:178], v[150:151], v[158:159]
	v_mul_f64 v[158:159], v[148:149], v[158:159]
	v_fma_f64 v[148:149], v[148:149], v[156:157], -v[177:178]
	s_waitcnt vmcnt(1) lgkmcnt(0)
	v_mul_f64 v[177:178], v[154:155], v[162:163]
	v_mul_f64 v[162:163], v[152:153], v[162:163]
	v_fma_f64 v[150:151], v[150:151], v[156:157], v[158:159]
	ds_read_b128 v[156:159], v255 offset:14784
	v_fma_f64 v[152:153], v[152:153], v[160:161], -v[177:178]
	v_fma_f64 v[154:155], v[154:155], v[160:161], v[162:163]
	s_waitcnt vmcnt(0) lgkmcnt(0)
	v_mul_f64 v[160:161], v[158:159], v[166:167]
	v_mul_f64 v[162:163], v[156:157], v[166:167]
	v_fma_f64 v[156:157], v[156:157], v[164:165], -v[160:161]
	v_fma_f64 v[158:159], v[158:159], v[164:165], v[162:163]
	ds_write_b128 v255, v[169:172]
	ds_write_b128 v255, v[173:176] offset:1232
	ds_write_b128 v255, v[0:3] offset:2464
	;; [unrolled: 1-line block ×12, first 2 shown]
.LBB0_13:
	s_or_b32 exec_lo, exec_lo, s2
	s_waitcnt lgkmcnt(0)
	s_barrier
	buffer_gl0_inv
	s_and_saveexec_b32 s1, vcc_lo
	s_cbranch_execz .LBB0_15
; %bb.14:
	ds_read_b128 v[140:143], v255
	ds_read_b128 v[108:111], v255 offset:1232
	ds_read_b128 v[116:119], v255 offset:2464
	;; [unrolled: 1-line block ×12, first 2 shown]
.LBB0_15:
	s_or_b32 exec_lo, exec_lo, s1
	s_waitcnt lgkmcnt(0)
	v_add_f64 v[162:163], v[110:111], -v[94:95]
	s_mov_b32 s8, 0x4267c47c
	s_mov_b32 s9, 0xbfddbe06
	v_add_f64 v[160:161], v[110:111], v[94:95]
	v_add_f64 v[219:220], v[118:119], -v[98:99]
	s_mov_b32 s2, 0xe00740e9
	s_mov_b32 s10, 0x42a4c3d2
	s_mov_b32 s3, 0x3fec55a7
	s_mov_b32 s11, 0xbfea55e2
	v_add_f64 v[217:218], v[118:119], v[98:99]
	v_add_f64 v[247:248], v[122:123], -v[102:103]
	s_mov_b32 s16, 0x1ea71119
	s_mov_b32 s18, 0x66966769
	;; [unrolled: 6-line block ×3, first 2 shown]
	s_mov_b32 s23, 0x3fbedb7d
	s_mov_b32 s21, 0xbfedeba7
	v_add_f64 v[18:19], v[130:131], v[106:107]
	v_mul_f64 v[0:1], v[162:163], s[8:9]
	v_add_f64 v[241:242], v[138:139], -v[114:115]
	s_mov_b32 s26, 0xb2365da1
	v_mul_f64 v[2:3], v[160:161], s[2:3]
	v_mul_f64 v[4:5], v[219:220], s[10:11]
	s_mov_b32 s24, 0x24c2f84
	s_mov_b32 s27, 0xbfd6b1d8
	s_mov_b32 s25, 0xbfe5384d
	v_add_f64 v[169:170], v[108:109], v[92:93]
	v_mul_f64 v[6:7], v[217:218], s[16:17]
	v_mul_f64 v[8:9], v[247:248], s[18:19]
	v_add_f64 v[175:176], v[108:109], -v[92:93]
	v_add_f64 v[171:172], v[116:117], v[96:97]
	v_add_f64 v[181:182], v[116:117], -v[96:97]
	v_add_f64 v[177:178], v[120:121], v[100:101]
	v_mul_f64 v[20:21], v[253:254], s[22:23]
	v_mul_f64 v[12:13], v[14:15], s[20:21]
	v_add_f64 v[189:190], v[120:121], -v[100:101]
	v_add_f64 v[185:186], v[128:129], v[104:105]
	v_add_f64 v[193:194], v[136:137], v[112:113]
	s_mov_b32 s28, 0xd0032e0c
	v_mul_f64 v[16:17], v[18:19], s[26:27]
	buffer_store_dword v0, off, s[48:51], 0 offset:148 ; 4-byte Folded Spill
	buffer_store_dword v1, off, s[48:51], 0 offset:152 ; 4-byte Folded Spill
	;; [unrolled: 1-line block ×10, first 2 shown]
	v_mul_f64 v[10:11], v[241:242], s[24:25]
	buffer_store_dword v20, off, s[48:51], 0 offset:220 ; 4-byte Folded Spill
	buffer_store_dword v21, off, s[48:51], 0 offset:224 ; 4-byte Folded Spill
	;; [unrolled: 1-line block ×8, first 2 shown]
	s_mov_b32 s29, 0xbfe7f3cc
	v_add_f64 v[243:244], v[138:139], v[114:115]
	v_add_f64 v[245:246], v[134:135], -v[126:127]
	s_mov_b32 s30, 0x4bc48dbf
	s_mov_b32 s31, 0xbfcea1e5
	v_add_f64 v[209:210], v[132:133], v[124:125]
	s_mov_b32 s34, 0x93053d00
	s_mov_b32 s35, 0xbfef11f4
	v_add_f64 v[173:174], v[134:135], v[126:127]
	v_add_f64 v[199:200], v[128:129], -v[104:105]
	v_add_f64 v[205:206], v[136:137], -v[112:113]
	;; [unrolled: 1-line block ×3, first 2 shown]
	s_mov_b32 s41, 0x3fe5384d
	s_mov_b32 s40, s24
	;; [unrolled: 1-line block ×6, first 2 shown]
	v_mul_f64 v[191:192], v[219:220], s[30:31]
	v_mul_f64 v[90:91], v[217:218], s[34:35]
	s_mov_b32 s45, 0x3fedeba7
	s_mov_b32 s44, s20
	v_mul_f64 v[195:196], v[253:254], s[26:27]
	v_mul_f64 v[187:188], v[247:248], s[44:45]
	;; [unrolled: 1-line block ×7, first 2 shown]
	s_mov_b32 s47, 0x3fcea1e5
	s_mov_b32 s46, s30
	v_mul_f64 v[203:204], v[243:244], s[34:35]
	v_mul_f64 v[201:202], v[241:242], s[46:47]
	s_mov_b32 s43, 0x3fea55e2
	s_mov_b32 s42, s10
	v_mul_f64 v[197:198], v[173:174], s[16:17]
	v_mul_f64 v[88:89], v[245:246], s[42:43]
	;; [unrolled: 1-line block ×12, first 2 shown]
	v_fma_f64 v[0:1], v[169:170], s[2:3], -v[0:1]
	v_fma_f64 v[2:3], v[175:176], s[8:9], v[2:3]
	v_fma_f64 v[4:5], v[171:172], s[16:17], -v[4:5]
	v_fma_f64 v[6:7], v[181:182], s[10:11], v[6:7]
	v_fma_f64 v[8:9], v[177:178], s[22:23], -v[8:9]
	v_add_f64 v[0:1], v[140:141], v[0:1]
	v_add_f64 v[2:3], v[142:143], v[2:3]
	;; [unrolled: 1-line block ×3, first 2 shown]
	v_fma_f64 v[4:5], v[189:190], s[18:19], v[20:21]
	v_add_f64 v[2:3], v[6:7], v[2:3]
	v_fma_f64 v[6:7], v[185:186], s[26:27], -v[12:13]
	v_mul_f64 v[12:13], v[243:244], s[28:29]
	buffer_store_dword v12, off, s[48:51], 0 offset:212 ; 4-byte Folded Spill
	buffer_store_dword v13, off, s[48:51], 0 offset:216 ; 4-byte Folded Spill
	v_add_f64 v[0:1], v[8:9], v[0:1]
	v_add_f64 v[2:3], v[4:5], v[2:3]
	v_fma_f64 v[4:5], v[193:194], s[28:29], -v[10:11]
	v_fma_f64 v[8:9], v[199:200], s[20:21], v[16:17]
	v_mul_f64 v[10:11], v[160:161], s[22:23]
	v_add_f64 v[0:1], v[6:7], v[0:1]
	v_add_f64 v[2:3], v[8:9], v[2:3]
	v_mul_f64 v[8:9], v[219:220], s[40:41]
	v_add_f64 v[0:1], v[4:5], v[0:1]
	v_mul_f64 v[4:5], v[245:246], s[30:31]
	buffer_store_dword v4, off, s[48:51], 0 offset:228 ; 4-byte Folded Spill
	buffer_store_dword v5, off, s[48:51], 0 offset:232 ; 4-byte Folded Spill
	v_fma_f64 v[6:7], v[205:206], s[24:25], v[12:13]
	v_add_f64 v[2:3], v[6:7], v[2:3]
	v_mul_f64 v[6:7], v[162:163], s[18:19]
	v_fma_f64 v[4:5], v[209:210], s[34:35], -v[4:5]
	v_add_f64 v[144:145], v[4:5], v[0:1]
	v_mul_f64 v[0:1], v[173:174], s[34:35]
	v_mul_f64 v[4:5], v[217:218], s[26:27]
	buffer_store_dword v0, off, s[48:51], 0 offset:236 ; 4-byte Folded Spill
	buffer_store_dword v1, off, s[48:51], 0 offset:240 ; 4-byte Folded Spill
	v_fma_f64 v[0:1], v[215:216], s[30:31], v[0:1]
	v_add_f64 v[146:147], v[0:1], v[2:3]
	v_mul_f64 v[0:1], v[162:163], s[10:11]
	v_mul_f64 v[2:3], v[219:220], s[20:21]
	;; [unrolled: 1-line block ×3, first 2 shown]
	v_fma_f64 v[162:163], v[169:170], s[34:35], -v[249:250]
	buffer_store_dword v0, off, s[48:51], 0 offset:356 ; 4-byte Folded Spill
	buffer_store_dword v1, off, s[48:51], 0 offset:360 ; 4-byte Folded Spill
	;; [unrolled: 1-line block ×4, first 2 shown]
	v_add_f64 v[162:163], v[140:141], v[162:163]
	v_fma_f64 v[0:1], v[169:170], s[16:17], -v[0:1]
	v_fma_f64 v[2:3], v[171:172], s[26:27], -v[2:3]
	v_add_f64 v[0:1], v[140:141], v[0:1]
	v_add_f64 v[0:1], v[2:3], v[0:1]
	v_mul_f64 v[2:3], v[160:161], s[16:17]
	v_fma_f64 v[160:161], v[175:176], s[30:31], v[251:252]
	buffer_store_dword v2, off, s[48:51], 0 offset:364 ; 4-byte Folded Spill
	buffer_store_dword v3, off, s[48:51], 0 offset:368 ; 4-byte Folded Spill
	buffer_store_dword v4, off, s[48:51], 0 offset:316 ; 4-byte Folded Spill
	buffer_store_dword v5, off, s[48:51], 0 offset:320 ; 4-byte Folded Spill
	v_add_f64 v[160:161], v[142:143], v[160:161]
	v_fma_f64 v[2:3], v[175:176], s[10:11], v[2:3]
	v_fma_f64 v[4:5], v[181:182], s[20:21], v[4:5]
	v_add_f64 v[2:3], v[142:143], v[2:3]
	v_add_f64 v[2:3], v[4:5], v[2:3]
	v_mul_f64 v[4:5], v[247:248], s[30:31]
	buffer_store_dword v4, off, s[48:51], 0 offset:292 ; 4-byte Folded Spill
	buffer_store_dword v5, off, s[48:51], 0 offset:296 ; 4-byte Folded Spill
	v_fma_f64 v[4:5], v[177:178], s[34:35], -v[4:5]
	v_add_f64 v[0:1], v[4:5], v[0:1]
	v_mul_f64 v[4:5], v[253:254], s[34:35]
	buffer_store_dword v4, off, s[48:51], 0 offset:300 ; 4-byte Folded Spill
	buffer_store_dword v5, off, s[48:51], 0 offset:304 ; 4-byte Folded Spill
	v_fma_f64 v[4:5], v[189:190], s[30:31], v[4:5]
	v_add_f64 v[2:3], v[4:5], v[2:3]
	v_mul_f64 v[4:5], v[14:15], s[40:41]
	buffer_store_dword v4, off, s[48:51], 0 offset:276 ; 4-byte Folded Spill
	buffer_store_dword v5, off, s[48:51], 0 offset:280 ; 4-byte Folded Spill
	v_fma_f64 v[4:5], v[185:186], s[28:29], -v[4:5]
	v_add_f64 v[0:1], v[4:5], v[0:1]
	v_mul_f64 v[4:5], v[18:19], s[28:29]
	buffer_store_dword v4, off, s[48:51], 0 offset:284 ; 4-byte Folded Spill
	buffer_store_dword v5, off, s[48:51], 0 offset:288 ; 4-byte Folded Spill
	v_fma_f64 v[4:5], v[199:200], s[40:41], v[4:5]
	;; [unrolled: 10-line block ×3, first 2 shown]
	v_add_f64 v[2:3], v[4:5], v[2:3]
	v_mul_f64 v[4:5], v[245:246], s[36:37]
	buffer_store_dword v4, off, s[48:51], 0 offset:244 ; 4-byte Folded Spill
	buffer_store_dword v5, off, s[48:51], 0 offset:248 ; 4-byte Folded Spill
	v_fma_f64 v[4:5], v[209:210], s[2:3], -v[4:5]
	v_add_f64 v[148:149], v[4:5], v[0:1]
	v_mul_f64 v[0:1], v[173:174], s[2:3]
	v_fma_f64 v[4:5], v[181:182], s[30:31], v[90:91]
	buffer_store_dword v0, off, s[48:51], 0 offset:252 ; 4-byte Folded Spill
	buffer_store_dword v1, off, s[48:51], 0 offset:256 ; 4-byte Folded Spill
	v_fma_f64 v[0:1], v[215:216], s[36:37], v[0:1]
	v_add_f64 v[150:151], v[0:1], v[2:3]
	v_fma_f64 v[0:1], v[169:170], s[22:23], -v[6:7]
	v_fma_f64 v[2:3], v[171:172], s[34:35], -v[191:192]
	v_add_f64 v[0:1], v[140:141], v[0:1]
	v_add_f64 v[0:1], v[2:3], v[0:1]
	v_fma_f64 v[2:3], v[175:176], s[18:19], v[10:11]
	v_add_f64 v[2:3], v[142:143], v[2:3]
	v_add_f64 v[2:3], v[4:5], v[2:3]
	v_fma_f64 v[4:5], v[177:178], s[26:27], -v[187:188]
	v_add_f64 v[0:1], v[4:5], v[0:1]
	v_fma_f64 v[4:5], v[189:190], s[44:45], v[195:196]
	v_add_f64 v[2:3], v[4:5], v[2:3]
	v_mul_f64 v[4:5], v[14:15], s[36:37]
	buffer_store_dword v4, off, s[48:51], 0 offset:372 ; 4-byte Folded Spill
	buffer_store_dword v5, off, s[48:51], 0 offset:376 ; 4-byte Folded Spill
	v_fma_f64 v[4:5], v[185:186], s[2:3], -v[4:5]
	v_add_f64 v[0:1], v[4:5], v[0:1]
	v_fma_f64 v[4:5], v[199:200], s[36:37], v[183:184]
	v_add_f64 v[2:3], v[4:5], v[2:3]
	v_mul_f64 v[4:5], v[241:242], s[10:11]
	buffer_store_dword v4, off, s[48:51], 0 offset:340 ; 4-byte Folded Spill
	buffer_store_dword v5, off, s[48:51], 0 offset:344 ; 4-byte Folded Spill
	v_fma_f64 v[4:5], v[193:194], s[16:17], -v[4:5]
	v_add_f64 v[0:1], v[4:5], v[0:1]
	v_mul_f64 v[4:5], v[243:244], s[16:17]
	buffer_store_dword v4, off, s[48:51], 0 offset:348 ; 4-byte Folded Spill
	buffer_store_dword v5, off, s[48:51], 0 offset:352 ; 4-byte Folded Spill
	v_fma_f64 v[4:5], v[205:206], s[10:11], v[4:5]
	v_add_f64 v[2:3], v[4:5], v[2:3]
	v_mul_f64 v[4:5], v[245:246], s[24:25]
	buffer_store_dword v4, off, s[48:51], 0 offset:324 ; 4-byte Folded Spill
	buffer_store_dword v5, off, s[48:51], 0 offset:328 ; 4-byte Folded Spill
	v_fma_f64 v[4:5], v[209:210], s[28:29], -v[4:5]
	v_add_f64 v[152:153], v[4:5], v[0:1]
	v_mul_f64 v[0:1], v[173:174], s[28:29]
	buffer_store_dword v0, off, s[48:51], 0 offset:332 ; 4-byte Folded Spill
	buffer_store_dword v1, off, s[48:51], 0 offset:336 ; 4-byte Folded Spill
	v_fma_f64 v[4:5], v[181:182], s[40:41], v[211:212]
	s_waitcnt_vscnt null, 0x0
	s_barrier
	buffer_gl0_inv
	v_fma_f64 v[0:1], v[215:216], s[24:25], v[0:1]
	v_add_f64 v[154:155], v[0:1], v[2:3]
	v_fma_f64 v[0:1], v[169:170], s[26:27], -v[221:222]
	v_fma_f64 v[2:3], v[171:172], s[28:29], -v[8:9]
	v_add_f64 v[0:1], v[140:141], v[0:1]
	v_add_f64 v[0:1], v[2:3], v[0:1]
	v_fma_f64 v[2:3], v[175:176], s[20:21], v[227:228]
	v_add_f64 v[2:3], v[142:143], v[2:3]
	v_add_f64 v[12:13], v[4:5], v[2:3]
	v_mul_f64 v[2:3], v[247:248], s[36:37]
	v_fma_f64 v[4:5], v[177:178], s[2:3], -v[2:3]
	v_add_f64 v[0:1], v[4:5], v[0:1]
	v_mul_f64 v[4:5], v[253:254], s[2:3]
	v_mul_f64 v[253:254], v[253:254], s[28:29]
	v_fma_f64 v[16:17], v[189:190], s[36:37], v[4:5]
	v_add_f64 v[12:13], v[16:17], v[12:13]
	v_fma_f64 v[16:17], v[185:186], s[22:23], -v[207:208]
	v_add_f64 v[16:17], v[16:17], v[0:1]
	v_mul_f64 v[0:1], v[18:19], s[22:23]
	v_mul_f64 v[18:19], v[18:19], s[16:17]
	v_fma_f64 v[20:21], v[199:200], s[18:19], v[0:1]
	v_add_f64 v[12:13], v[20:21], v[12:13]
	v_fma_f64 v[20:21], v[193:194], s[34:35], -v[201:202]
	v_add_f64 v[16:17], v[20:21], v[16:17]
	v_fma_f64 v[20:21], v[205:206], s[46:47], v[203:204]
	v_add_f64 v[12:13], v[20:21], v[12:13]
	v_fma_f64 v[20:21], v[209:210], s[16:17], -v[88:89]
	v_add_f64 v[156:157], v[20:21], v[16:17]
	v_fma_f64 v[16:17], v[215:216], s[42:43], v[197:198]
	v_fma_f64 v[20:21], v[181:182], s[38:39], v[231:232]
	v_add_f64 v[158:159], v[16:17], v[12:13]
	v_fma_f64 v[12:13], v[169:170], s[28:29], -v[235:236]
	v_fma_f64 v[16:17], v[171:172], s[22:23], -v[225:226]
	v_add_f64 v[12:13], v[140:141], v[12:13]
	v_add_f64 v[12:13], v[16:17], v[12:13]
	v_fma_f64 v[16:17], v[175:176], s[24:25], v[237:238]
	v_add_f64 v[16:17], v[142:143], v[16:17]
	v_add_f64 v[16:17], v[20:21], v[16:17]
	v_fma_f64 v[20:21], v[177:178], s[16:17], -v[229:230]
	v_add_f64 v[12:13], v[20:21], v[12:13]
	v_fma_f64 v[20:21], v[189:190], s[10:11], v[233:234]
	v_add_f64 v[16:17], v[20:21], v[16:17]
	v_fma_f64 v[20:21], v[185:186], s[34:35], -v[213:214]
	v_add_f64 v[12:13], v[20:21], v[12:13]
	v_fma_f64 v[20:21], v[199:200], s[46:47], v[223:224]
	v_add_f64 v[16:17], v[20:21], v[16:17]
	v_mul_f64 v[20:21], v[241:242], s[36:37]
	v_fma_f64 v[22:23], v[193:194], s[2:3], -v[20:21]
	v_add_f64 v[164:165], v[22:23], v[12:13]
	v_mul_f64 v[22:23], v[243:244], s[2:3]
	v_fma_f64 v[12:13], v[205:206], s[36:37], v[22:23]
	v_add_f64 v[166:167], v[12:13], v[16:17]
	v_mul_f64 v[12:13], v[245:246], s[20:21]
	v_fma_f64 v[16:17], v[209:210], s[26:27], -v[12:13]
	v_add_f64 v[164:165], v[16:17], v[164:165]
	v_mul_f64 v[16:17], v[173:174], s[26:27]
	v_fma_f64 v[239:240], v[215:216], s[20:21], v[16:17]
	v_add_f64 v[166:167], v[239:240], v[166:167]
	v_fma_f64 v[239:240], v[171:172], s[2:3], -v[219:220]
	v_add_f64 v[162:163], v[239:240], v[162:163]
	v_mul_f64 v[239:240], v[217:218], s[2:3]
	v_fma_f64 v[217:218], v[181:182], s[36:37], v[239:240]
	v_add_f64 v[160:161], v[217:218], v[160:161]
	v_mul_f64 v[217:218], v[247:248], s[24:25]
	v_fma_f64 v[247:248], v[177:178], s[28:29], -v[217:218]
	v_add_f64 v[162:163], v[247:248], v[162:163]
	v_fma_f64 v[247:248], v[189:190], s[24:25], v[253:254]
	v_add_f64 v[160:161], v[247:248], v[160:161]
	v_mul_f64 v[247:248], v[14:15], s[42:43]
	v_fma_f64 v[14:15], v[185:186], s[16:17], -v[247:248]
	v_add_f64 v[162:163], v[14:15], v[162:163]
	;; [unrolled: 5-line block ×3, first 2 shown]
	v_mul_f64 v[241:242], v[243:244], s[26:27]
	v_fma_f64 v[243:244], v[205:206], s[20:21], v[241:242]
	v_add_f64 v[179:180], v[243:244], v[160:161]
	v_mul_f64 v[243:244], v[245:246], s[38:39]
	v_mul_f64 v[245:246], v[173:174], s[22:23]
	v_fma_f64 v[160:161], v[209:210], s[22:23], -v[243:244]
	v_add_f64 v[160:161], v[160:161], v[162:163]
	v_fma_f64 v[162:163], v[215:216], s[38:39], v[245:246]
	v_add_f64 v[162:163], v[162:163], v[179:180]
	s_and_saveexec_b32 s1, vcc_lo
	s_cbranch_execz .LBB0_17
; %bb.16:
	v_add_f64 v[110:111], v[142:143], v[110:111]
	v_add_f64 v[108:109], v[140:141], v[108:109]
	v_mul_f64 v[179:180], v[171:172], s[28:29]
	v_mul_f64 v[173:174], v[181:182], s[38:39]
	v_add_f64 v[110:111], v[110:111], v[118:119]
	v_add_f64 v[108:109], v[108:109], v[116:117]
	v_mul_f64 v[116:117], v[175:176], s[24:25]
	v_add_f64 v[8:9], v[179:180], v[8:9]
	v_mul_f64 v[179:180], v[181:182], s[30:31]
	v_mul_f64 v[118:119], v[169:170], s[28:29]
	v_add_f64 v[173:174], v[231:232], -v[173:174]
	v_add_f64 v[110:111], v[110:111], v[122:123]
	v_add_f64 v[108:109], v[108:109], v[120:121]
	v_mul_f64 v[120:121], v[175:176], s[20:21]
	v_mul_f64 v[122:123], v[169:170], s[26:27]
	v_add_f64 v[90:91], v[90:91], -v[179:180]
	v_mul_f64 v[179:180], v[181:182], s[20:21]
	v_add_f64 v[118:119], v[118:119], v[235:236]
	v_add_f64 v[116:117], v[237:238], -v[116:117]
	v_add_f64 v[110:111], v[110:111], v[130:131]
	v_add_f64 v[108:109], v[108:109], v[128:129]
	v_add_f64 v[120:121], v[227:228], -v[120:121]
	v_add_f64 v[122:123], v[122:123], v[221:222]
	v_mul_f64 v[221:222], v[189:190], s[36:37]
	v_add_f64 v[118:119], v[140:141], v[118:119]
	v_add_f64 v[116:117], v[142:143], v[116:117]
	;; [unrolled: 1-line block ×4, first 2 shown]
	v_mul_f64 v[136:137], v[199:200], s[42:43]
	v_add_f64 v[122:123], v[140:141], v[122:123]
	v_add_f64 v[4:5], v[4:5], -v[221:222]
	v_mul_f64 v[221:222], v[177:178], s[2:3]
	v_add_f64 v[120:121], v[142:143], v[120:121]
	v_mul_f64 v[138:139], v[215:216], s[38:39]
	v_add_f64 v[110:111], v[110:111], v[134:135]
	v_add_f64 v[108:109], v[108:109], v[132:133]
	v_mul_f64 v[134:135], v[177:178], s[28:29]
	v_add_f64 v[18:19], v[18:19], -v[136:137]
	v_mul_f64 v[136:137], v[185:186], s[16:17]
	v_add_f64 v[2:3], v[221:222], v[2:3]
	v_mul_f64 v[221:222], v[189:190], s[44:45]
	v_add_f64 v[8:9], v[8:9], v[122:123]
	v_mul_f64 v[122:123], v[193:194], s[28:29]
	v_add_f64 v[138:139], v[245:246], -v[138:139]
	v_add_f64 v[110:111], v[110:111], v[126:127]
	s_clause 0x3
	buffer_load_dword v126, off, s[48:51], 0 offset:364
	buffer_load_dword v127, off, s[48:51], 0 offset:368
	;; [unrolled: 1-line block ×4, first 2 shown]
	v_add_f64 v[108:109], v[108:109], v[124:125]
	v_mul_f64 v[124:125], v[175:176], s[18:19]
	s_clause 0x3
	buffer_load_dword v130, off, s[48:51], 0 offset:164
	buffer_load_dword v131, off, s[48:51], 0 offset:168
	;; [unrolled: 1-line block ×4, first 2 shown]
	v_add_f64 v[134:135], v[134:135], v[217:218]
	v_add_f64 v[195:196], v[195:196], -v[221:222]
	v_mul_f64 v[221:222], v[177:178], s[26:27]
	v_add_f64 v[136:137], v[136:137], v[247:248]
	v_add_f64 v[2:3], v[2:3], v[8:9]
	;; [unrolled: 1-line block ×3, first 2 shown]
	v_mul_f64 v[114:115], v[169:170], s[34:35]
	v_add_f64 v[108:109], v[108:109], v[112:113]
	v_add_f64 v[10:11], v[10:11], -v[124:125]
	v_mul_f64 v[124:125], v[169:170], s[22:23]
	v_mul_f64 v[112:113], v[175:176], s[30:31]
	v_add_f64 v[187:188], v[221:222], v[187:188]
	v_mul_f64 v[221:222], v[189:190], s[30:31]
	v_add_f64 v[106:107], v[110:111], v[106:107]
	;; [unrolled: 2-line block ×3, first 2 shown]
	v_add_f64 v[104:105], v[108:109], v[104:105]
	v_mul_f64 v[108:109], v[181:182], s[36:37]
	v_add_f64 v[6:7], v[124:125], v[6:7]
	v_mul_f64 v[124:125], v[175:176], s[10:11]
	v_add_f64 v[112:113], v[251:252], -v[112:113]
	v_add_f64 v[10:11], v[142:143], v[10:11]
	v_add_f64 v[102:103], v[106:107], v[102:103]
	;; [unrolled: 1-line block ×5, first 2 shown]
	v_add_f64 v[108:109], v[239:240], -v[108:109]
	v_add_f64 v[6:7], v[140:141], v[6:7]
	v_mul_f64 v[104:105], v[209:210], s[28:29]
	v_add_f64 v[112:113], v[142:143], v[112:113]
	v_add_f64 v[10:11], v[90:91], v[10:11]
	v_mul_f64 v[106:107], v[215:216], s[36:37]
	v_add_f64 v[98:99], v[102:103], v[98:99]
	v_add_f64 v[110:111], v[110:111], v[114:115]
	;; [unrolled: 1-line block ×4, first 2 shown]
	v_mul_f64 v[112:113], v[205:206], s[24:25]
	v_add_f64 v[10:11], v[195:196], v[10:11]
	v_add_f64 v[110:111], v[134:135], v[110:111]
	s_waitcnt vmcnt(6)
	v_add_f64 v[124:125], v[126:127], -v[124:125]
	v_mul_f64 v[126:127], v[169:170], s[16:17]
	v_add_f64 v[124:125], v[142:143], v[124:125]
	s_waitcnt vmcnt(4)
	v_add_f64 v[126:127], v[126:127], v[128:129]
	v_mul_f64 v[128:129], v[175:176], s[8:9]
	v_mul_f64 v[175:176], v[181:182], s[40:41]
	;; [unrolled: 1-line block ×3, first 2 shown]
	v_add_f64 v[126:127], v[140:141], v[126:127]
	s_waitcnt vmcnt(2)
	v_add_f64 v[128:129], v[130:131], -v[128:129]
	v_add_f64 v[175:176], v[211:212], -v[175:176]
	s_clause 0x3
	buffer_load_dword v211, off, s[48:51], 0 offset:316
	buffer_load_dword v212, off, s[48:51], 0 offset:320
	;; [unrolled: 1-line block ×4, first 2 shown]
	v_mul_f64 v[130:131], v[169:170], s[2:3]
	v_mul_f64 v[169:170], v[193:194], s[26:27]
	v_add_f64 v[128:129], v[142:143], v[128:129]
	v_mul_f64 v[142:143], v[209:210], s[22:23]
	s_waitcnt vmcnt(4)
	v_add_f64 v[130:131], v[130:131], v[132:133]
	v_mul_f64 v[132:133], v[189:190], s[24:25]
	v_add_f64 v[14:15], v[169:170], v[14:15]
	v_mul_f64 v[169:170], v[189:190], s[10:11]
	v_mul_f64 v[189:190], v[189:190], s[18:19]
	v_add_f64 v[142:143], v[142:143], v[243:244]
	v_add_f64 v[130:131], v[140:141], v[130:131]
	v_mul_f64 v[140:141], v[205:206], s[20:21]
	v_add_f64 v[132:133], v[253:254], -v[132:133]
	v_add_f64 v[169:170], v[233:234], -v[169:170]
	v_add_f64 v[140:141], v[241:242], -v[140:141]
	v_add_f64 v[108:109], v[132:133], v[108:109]
	v_add_f64 v[18:19], v[18:19], v[108:109]
	;; [unrolled: 1-line block ×3, first 2 shown]
	v_mul_f64 v[110:111], v[215:216], s[20:21]
	v_add_f64 v[18:19], v[140:141], v[18:19]
	v_add_f64 v[14:15], v[14:15], v[108:109]
	v_add_f64 v[16:17], v[16:17], -v[110:111]
	v_mul_f64 v[108:109], v[209:210], s[2:3]
	s_waitcnt vmcnt(2)
	v_add_f64 v[179:180], v[211:212], -v[179:180]
	v_mul_f64 v[211:212], v[171:172], s[26:27]
	v_add_f64 v[90:91], v[179:180], v[124:125]
	s_waitcnt vmcnt(0)
	v_add_f64 v[211:212], v[211:212], v[217:218]
	s_clause 0x3
	buffer_load_dword v217, off, s[48:51], 0 offset:180
	buffer_load_dword v218, off, s[48:51], 0 offset:184
	;; [unrolled: 1-line block ×4, first 2 shown]
	v_add_f64 v[126:127], v[211:212], v[126:127]
	s_waitcnt vmcnt(2)
	v_add_f64 v[181:182], v[217:218], -v[181:182]
	v_mul_f64 v[217:218], v[171:172], s[16:17]
	s_waitcnt vmcnt(0)
	v_add_f64 v[217:218], v[217:218], v[219:220]
	v_mul_f64 v[219:220], v[171:172], s[34:35]
	v_mul_f64 v[171:172], v[171:172], s[22:23]
	v_add_f64 v[124:125], v[217:218], v[130:131]
	v_add_f64 v[191:192], v[219:220], v[191:192]
	;; [unrolled: 1-line block ×3, first 2 shown]
	s_clause 0x3
	buffer_load_dword v225, off, s[48:51], 0 offset:300
	buffer_load_dword v226, off, s[48:51], 0 offset:304
	buffer_load_dword v227, off, s[48:51], 0 offset:292
	buffer_load_dword v228, off, s[48:51], 0 offset:296
	v_mul_f64 v[219:220], v[177:178], s[16:17]
	v_mul_f64 v[130:131], v[209:210], s[34:35]
	v_add_f64 v[6:7], v[191:192], v[6:7]
	v_add_f64 v[118:119], v[171:172], v[118:119]
	;; [unrolled: 1-line block ×5, first 2 shown]
	v_mul_f64 v[118:119], v[209:210], s[26:27]
	s_waitcnt vmcnt(2)
	v_add_f64 v[221:222], v[225:226], -v[221:222]
	v_mul_f64 v[225:226], v[177:178], s[34:35]
	v_mul_f64 v[177:178], v[177:178], s[22:23]
	v_add_f64 v[90:91], v[221:222], v[90:91]
	s_waitcnt vmcnt(0)
	v_add_f64 v[225:226], v[225:226], v[227:228]
	s_clause 0x1
	buffer_load_dword v227, off, s[48:51], 0 offset:220
	buffer_load_dword v228, off, s[48:51], 0 offset:224
	s_waitcnt vmcnt(0)
	v_add_f64 v[189:190], v[227:228], -v[189:190]
	s_clause 0x7
	buffer_load_dword v227, off, s[48:51], 0 offset:172
	buffer_load_dword v228, off, s[48:51], 0 offset:176
	;; [unrolled: 1-line block ×8, first 2 shown]
	s_waitcnt vmcnt(6)
	v_add_f64 v[177:178], v[177:178], v[227:228]
	v_mul_f64 v[227:228], v[199:200], s[46:47]
	v_add_f64 v[223:224], v[223:224], -v[227:228]
	v_mul_f64 v[227:228], v[185:186], s[34:35]
	v_add_f64 v[213:214], v[227:228], v[213:214]
	v_mul_f64 v[227:228], v[199:200], s[18:19]
	v_add_f64 v[8:9], v[213:214], v[8:9]
	v_add_f64 v[0:1], v[0:1], -v[227:228]
	v_mul_f64 v[227:228], v[185:186], s[22:23]
	v_add_f64 v[207:208], v[227:228], v[207:208]
	v_mul_f64 v[227:228], v[199:200], s[36:37]
	v_add_f64 v[2:3], v[207:208], v[2:3]
	v_add_f64 v[183:184], v[183:184], -v[227:228]
	v_mul_f64 v[227:228], v[185:186], s[2:3]
	s_waitcnt vmcnt(4)
	v_add_f64 v[227:228], v[227:228], v[229:230]
	v_mul_f64 v[229:230], v[199:200], s[40:41]
	v_mul_f64 v[199:200], v[199:200], s[20:21]
	v_add_f64 v[6:7], v[227:228], v[6:7]
	s_waitcnt vmcnt(2)
	v_add_f64 v[229:230], v[231:232], -v[229:230]
	v_mul_f64 v[231:232], v[185:186], s[28:29]
	v_mul_f64 v[185:186], v[185:186], s[26:27]
	s_waitcnt vmcnt(0)
	v_add_f64 v[231:232], v[231:232], v[233:234]
	s_clause 0x1
	buffer_load_dword v233, off, s[48:51], 0 offset:204
	buffer_load_dword v234, off, s[48:51], 0 offset:208
	s_waitcnt vmcnt(0)
	v_add_f64 v[199:200], v[233:234], -v[199:200]
	s_clause 0xb
	buffer_load_dword v233, off, s[48:51], 0 offset:196
	buffer_load_dword v234, off, s[48:51], 0 offset:200
	;; [unrolled: 1-line block ×12, first 2 shown]
	s_waitcnt vmcnt(10)
	v_add_f64 v[185:186], v[185:186], v[233:234]
	v_mul_f64 v[233:234], v[205:206], s[36:37]
	s_waitcnt vmcnt(0)
	v_add_f64 v[112:113], v[114:115], -v[112:113]
	v_add_f64 v[114:115], v[173:174], v[116:117]
	v_add_f64 v[116:117], v[175:176], v[120:121]
	;; [unrolled: 1-line block ×3, first 2 shown]
	s_clause 0x1
	buffer_load_dword v128, off, s[48:51], 0 offset:188
	buffer_load_dword v129, off, s[48:51], 0 offset:192
	v_add_f64 v[22:23], v[22:23], -v[233:234]
	v_mul_f64 v[233:234], v[193:194], s[2:3]
	v_add_f64 v[114:115], v[169:170], v[114:115]
	v_add_f64 v[4:5], v[4:5], v[116:117]
	;; [unrolled: 1-line block ×5, first 2 shown]
	v_mul_f64 v[126:127], v[209:210], s[16:17]
	v_add_f64 v[20:21], v[233:234], v[20:21]
	v_mul_f64 v[233:234], v[205:206], s[46:47]
	v_add_f64 v[110:111], v[223:224], v[114:115]
	v_add_f64 v[0:1], v[0:1], v[4:5]
	;; [unrolled: 1-line block ×7, first 2 shown]
	v_mul_f64 v[120:121], v[215:216], s[42:43]
	v_mul_f64 v[124:125], v[215:216], s[24:25]
	v_add_f64 v[88:89], v[126:127], v[88:89]
	v_add_f64 v[203:204], v[203:204], -v[233:234]
	v_mul_f64 v[233:234], v[193:194], s[34:35]
	v_add_f64 v[22:23], v[22:23], v[110:111]
	v_add_f64 v[110:111], v[118:119], v[12:13]
	;; [unrolled: 1-line block ×3, first 2 shown]
	v_add_f64 v[12:13], v[197:198], -v[120:121]
	v_add_f64 v[118:119], v[203:204], v[0:1]
	s_clause 0x1
	buffer_load_dword v0, off, s[48:51], 0 offset:332
	buffer_load_dword v1, off, s[48:51], 0 offset:336
	v_add_f64 v[201:202], v[233:234], v[201:202]
	v_mul_f64 v[233:234], v[205:206], s[10:11]
	v_add_f64 v[233:234], v[235:236], -v[233:234]
	v_mul_f64 v[235:236], v[193:194], s[16:17]
	v_add_f64 v[4:5], v[233:234], v[4:5]
	v_add_f64 v[235:236], v[235:236], v[237:238]
	v_mul_f64 v[237:238], v[205:206], s[38:39]
	v_add_f64 v[237:238], v[239:240], -v[237:238]
	v_mul_f64 v[239:240], v[193:194], s[22:23]
	v_add_f64 v[239:240], v[239:240], v[241:242]
	v_add_f64 v[116:117], v[239:240], v[116:117]
	s_waitcnt vmcnt(2)
	v_add_f64 v[122:123], v[122:123], v[128:129]
	v_mul_f64 v[128:129], v[215:216], s[30:31]
	v_add_f64 v[114:115], v[122:123], v[114:115]
	v_add_f64 v[122:123], v[235:236], v[6:7]
	v_add_f64 v[6:7], v[16:17], v[22:23]
	s_waitcnt vmcnt(0)
	v_add_f64 v[120:121], v[0:1], -v[124:125]
	s_clause 0x1
	buffer_load_dword v0, off, s[48:51], 0 offset:324
	buffer_load_dword v1, off, s[48:51], 0 offset:328
	v_add_f64 v[124:125], v[237:238], v[10:11]
	v_add_f64 v[10:11], v[12:13], v[118:119]
	s_waitcnt vmcnt(0)
	v_add_f64 v[104:105], v[104:105], v[0:1]
	s_clause 0x1
	buffer_load_dword v0, off, s[48:51], 0 offset:252
	buffer_load_dword v1, off, s[48:51], 0 offset:256
	v_add_f64 v[12:13], v[104:105], v[122:123]
	s_waitcnt vmcnt(0)
	v_add_f64 v[106:107], v[0:1], -v[106:107]
	s_clause 0x1
	buffer_load_dword v0, off, s[48:51], 0 offset:244
	buffer_load_dword v1, off, s[48:51], 0 offset:248
	s_waitcnt vmcnt(0)
	v_add_f64 v[108:109], v[108:109], v[0:1]
	s_clause 0x1
	buffer_load_dword v0, off, s[48:51], 0 offset:236
	buffer_load_dword v1, off, s[48:51], 0 offset:240
	v_add_f64 v[16:17], v[108:109], v[116:117]
	s_waitcnt vmcnt(0)
	v_add_f64 v[126:127], v[0:1], -v[128:129]
	s_clause 0x1
	buffer_load_dword v0, off, s[48:51], 0 offset:228
	buffer_load_dword v1, off, s[48:51], 0 offset:232
	v_add_f64 v[128:129], v[201:202], v[2:3]
	v_add_f64 v[2:3], v[138:139], v[18:19]
	;; [unrolled: 1-line block ×5, first 2 shown]
	s_waitcnt vmcnt(0)
	v_add_f64 v[112:113], v[130:131], v[0:1]
	v_add_f64 v[130:131], v[20:21], v[8:9]
	;; [unrolled: 1-line block ×4, first 2 shown]
	s_clause 0x1
	buffer_load_dword v92, off, s[48:51], 0 offset:48
	buffer_load_dword v93, off, s[48:51], 0 offset:28
	v_add_f64 v[0:1], v[142:143], v[14:15]
	v_add_f64 v[14:15], v[120:121], v[4:5]
	;; [unrolled: 1-line block ×4, first 2 shown]
	s_waitcnt vmcnt(1)
	v_and_b32_e32 v92, 0xffff, v92
	s_waitcnt vmcnt(0)
	v_lshl_add_u32 v92, v92, 4, v93
	ds_write_b128 v92, v[160:163] offset:112
	ds_write_b128 v92, v[164:167] offset:128
	;; [unrolled: 1-line block ×11, first 2 shown]
	ds_write_b128 v92, v[88:91]
	ds_write_b128 v92, v[144:147] offset:192
.LBB0_17:
	s_or_b32 exec_lo, exec_lo, s1
	s_waitcnt lgkmcnt(0)
	s_barrier
	buffer_gl0_inv
	ds_read_b128 v[92:95], v168
	ds_read_b128 v[112:115], v168 offset:2288
	ds_read_b128 v[108:111], v168 offset:4576
	;; [unrolled: 1-line block ×6, first 2 shown]
	s_and_saveexec_b32 s1, s0
	s_cbranch_execz .LBB0_19
; %bb.18:
	ds_read_b128 v[160:163], v168 offset:1456
	ds_read_b128 v[164:167], v168 offset:3744
	;; [unrolled: 1-line block ×7, first 2 shown]
	s_waitcnt lgkmcnt(0)
	buffer_store_dword v0, off, s[48:51], 0 offset:8 ; 4-byte Folded Spill
	buffer_store_dword v1, off, s[48:51], 0 offset:12 ; 4-byte Folded Spill
	;; [unrolled: 1-line block ×4, first 2 shown]
.LBB0_19:
	s_or_b32 exec_lo, exec_lo, s1
	s_waitcnt lgkmcnt(5)
	v_mul_f64 v[2:3], v[74:75], v[112:113]
	s_waitcnt lgkmcnt(4)
	v_mul_f64 v[6:7], v[70:71], v[108:109]
	;; [unrolled: 2-line block ×3, first 2 shown]
	v_mul_f64 v[14:15], v[82:83], v[104:105]
	v_mul_f64 v[0:1], v[74:75], v[114:115]
	;; [unrolled: 1-line block ×9, first 2 shown]
	s_mov_b32 s10, 0x37e14327
	s_mov_b32 s18, 0xe976ee23
	;; [unrolled: 1-line block ×10, first 2 shown]
	v_fma_f64 v[2:3], v[72:73], v[114:115], -v[2:3]
	v_fma_f64 v[6:7], v[68:69], v[110:111], -v[6:7]
	v_fma_f64 v[10:11], v[76:77], v[118:119], -v[10:11]
	v_fma_f64 v[14:15], v[80:81], v[106:107], -v[14:15]
	v_fma_f64 v[0:1], v[72:73], v[112:113], v[0:1]
	v_fma_f64 v[4:5], v[68:69], v[108:109], v[4:5]
	;; [unrolled: 1-line block ×5, first 2 shown]
	v_fma_f64 v[18:19], v[60:61], v[102:103], -v[18:19]
	v_fma_f64 v[20:21], v[64:65], v[96:97], v[20:21]
	v_fma_f64 v[22:23], v[64:65], v[98:99], -v[22:23]
	s_mov_b32 s17, 0xbff2aaaa
	s_mov_b32 s25, 0xbfd5d0dc
	;; [unrolled: 1-line block ×10, first 2 shown]
	s_waitcnt_vscnt null, 0x0
	s_barrier
	v_add_f64 v[62:63], v[2:3], v[10:11]
	v_add_f64 v[66:67], v[6:7], v[14:15]
	v_add_f64 v[6:7], v[6:7], -v[14:15]
	v_add_f64 v[10:11], v[2:3], -v[10:11]
	v_add_f64 v[60:61], v[0:1], v[8:9]
	v_add_f64 v[64:65], v[4:5], v[12:13]
	v_add_f64 v[4:5], v[4:5], -v[12:13]
	v_add_f64 v[8:9], v[0:1], -v[8:9]
	;; [unrolled: 4-line block ×3, first 2 shown]
	buffer_gl0_inv
	v_add_f64 v[2:3], v[66:67], v[62:63]
	v_add_f64 v[74:75], v[6:7], -v[10:11]
	v_add_f64 v[0:1], v[64:65], v[60:61]
	v_add_f64 v[72:73], v[4:5], -v[8:9]
	v_add_f64 v[20:21], v[60:61], -v[12:13]
	;; [unrolled: 1-line block ×5, first 2 shown]
	v_add_f64 v[4:5], v[16:17], v[4:5]
	v_add_f64 v[6:7], v[18:19], v[6:7]
	v_add_f64 v[16:17], v[8:9], -v[16:17]
	v_add_f64 v[18:19], v[10:11], -v[18:19]
	;; [unrolled: 1-line block ×4, first 2 shown]
	v_add_f64 v[78:79], v[14:15], v[2:3]
	v_add_f64 v[14:15], v[14:15], -v[66:67]
	v_mul_f64 v[82:83], v[74:75], s[2:3]
	v_add_f64 v[76:77], v[12:13], v[0:1]
	v_add_f64 v[12:13], v[12:13], -v[64:65]
	v_mul_f64 v[80:81], v[72:73], s[2:3]
	v_mul_f64 v[20:21], v[20:21], s[10:11]
	v_mul_f64 v[22:23], v[22:23], s[10:11]
	v_mul_f64 v[68:69], v[68:69], s[18:19]
	v_mul_f64 v[70:71], v[70:71], s[18:19]
	v_add_f64 v[4:5], v[4:5], v[8:9]
	v_add_f64 v[6:7], v[6:7], v[10:11]
	;; [unrolled: 1-line block ×3, first 2 shown]
	v_mul_f64 v[66:67], v[14:15], s[8:9]
	v_add_f64 v[0:1], v[92:93], v[76:77]
	v_mul_f64 v[64:65], v[12:13], s[8:9]
	v_fma_f64 v[8:9], v[12:13], s[8:9], v[20:21]
	v_fma_f64 v[10:11], v[14:15], s[8:9], v[22:23]
	;; [unrolled: 1-line block ×4, first 2 shown]
	v_fma_f64 v[70:71], v[74:75], s[2:3], -v[70:71]
	v_fma_f64 v[18:19], v[18:19], s[26:27], -v[82:83]
	;; [unrolled: 1-line block ×6, first 2 shown]
	v_fma_f64 v[74:75], v[78:79], s[16:17], v[2:3]
	v_fma_f64 v[62:63], v[62:63], s[20:21], -v[66:67]
	v_fma_f64 v[72:73], v[76:77], s[16:17], v[0:1]
	v_fma_f64 v[60:61], v[60:61], s[20:21], -v[64:65]
	v_fma_f64 v[64:65], v[4:5], s[28:29], v[12:13]
	v_fma_f64 v[66:67], v[6:7], s[28:29], v[14:15]
	;; [unrolled: 1-line block ×6, first 2 shown]
	v_add_f64 v[82:83], v[10:11], v[74:75]
	v_add_f64 v[18:19], v[62:63], v[74:75]
	;; [unrolled: 1-line block ×6, first 2 shown]
	v_add_f64 v[6:7], v[82:83], -v[64:65]
	v_add_f64 v[62:63], v[64:65], v[82:83]
	buffer_load_dword v64, off, s[48:51], 0 offset:40 ; 4-byte Folded Reload
	v_add_f64 v[10:11], v[22:23], -v[76:77]
	v_add_f64 v[4:5], v[66:67], v[80:81]
	v_add_f64 v[8:9], v[78:79], v[20:21]
	v_add_f64 v[12:13], v[16:17], -v[70:71]
	v_add_f64 v[14:15], v[68:69], v[18:19]
	v_add_f64 v[16:17], v[70:71], v[16:17]
	v_add_f64 v[18:19], v[18:19], -v[68:69]
	v_add_f64 v[20:21], v[20:21], -v[78:79]
	v_add_f64 v[22:23], v[76:77], v[22:23]
	v_add_f64 v[60:61], v[80:81], -v[66:67]
	s_waitcnt vmcnt(0)
	ds_write_b128 v64, v[0:3]
	ds_write_b128 v64, v[4:7] offset:208
	ds_write_b128 v64, v[8:11] offset:416
	;; [unrolled: 1-line block ×6, first 2 shown]
	s_and_saveexec_b32 s1, s0
	s_cbranch_execz .LBB0_21
; %bb.20:
	s_clause 0x13
	buffer_load_dword v74, off, s[48:51], 0 offset:116
	buffer_load_dword v75, off, s[48:51], 0 offset:120
	;; [unrolled: 1-line block ×20, first 2 shown]
	s_waitcnt vmcnt(14)
	v_mul_f64 v[0:1], v[76:77], v[88:89]
	s_waitcnt vmcnt(8)
	v_mul_f64 v[2:3], v[70:71], v[164:165]
	v_mul_f64 v[8:9], v[70:71], v[166:167]
	s_clause 0x7
	buffer_load_dword v70, off, s[48:51], 0 offset:100
	buffer_load_dword v71, off, s[48:51], 0 offset:104
	;; [unrolled: 1-line block ×8, first 2 shown]
	s_waitcnt vmcnt(12)
	v_mul_f64 v[4:5], v[80:81], v[144:145]
	s_waitcnt vmcnt(8)
	v_mul_f64 v[6:7], v[66:67], v[156:157]
	v_mul_f64 v[10:11], v[76:77], v[90:91]
	v_mul_f64 v[12:13], v[66:67], v[158:159]
	v_mul_f64 v[14:15], v[80:81], v[146:147]
	v_fma_f64 v[0:1], v[74:75], v[90:91], -v[0:1]
	v_fma_f64 v[2:3], v[68:69], v[166:167], -v[2:3]
	v_fma_f64 v[8:9], v[68:69], v[164:165], v[8:9]
	v_fma_f64 v[4:5], v[78:79], v[146:147], -v[4:5]
	v_fma_f64 v[6:7], v[64:65], v[158:159], -v[6:7]
	v_fma_f64 v[10:11], v[74:75], v[88:89], v[10:11]
	v_fma_f64 v[12:13], v[64:65], v[156:157], v[12:13]
	;; [unrolled: 1-line block ×3, first 2 shown]
	v_add_f64 v[64:65], v[8:9], v[10:11]
	v_add_f64 v[8:9], v[8:9], -v[10:11]
	v_add_f64 v[66:67], v[12:13], v[14:15]
	v_add_f64 v[12:13], v[12:13], -v[14:15]
	s_waitcnt vmcnt(4)
	v_mul_f64 v[16:17], v[72:73], v[150:151]
	s_waitcnt vmcnt(0)
	v_mul_f64 v[18:19], v[62:63], v[154:155]
	v_mul_f64 v[20:21], v[62:63], v[152:153]
	;; [unrolled: 1-line block ×3, first 2 shown]
	v_add_f64 v[62:63], v[6:7], v[4:5]
	v_add_f64 v[4:5], v[6:7], -v[4:5]
	v_add_f64 v[6:7], v[2:3], -v[0:1]
	v_fma_f64 v[16:17], v[70:71], v[148:149], v[16:17]
	v_fma_f64 v[18:19], v[60:61], v[152:153], v[18:19]
	v_fma_f64 v[20:21], v[60:61], v[154:155], -v[20:21]
	v_fma_f64 v[22:23], v[70:71], v[150:151], -v[22:23]
	v_add_f64 v[60:61], v[2:3], v[0:1]
	v_add_f64 v[0:1], v[66:67], v[64:65]
	v_add_f64 v[70:71], v[12:13], -v[8:9]
	v_add_f64 v[74:75], v[4:5], -v[6:7]
	;; [unrolled: 1-line block ×3, first 2 shown]
	v_add_f64 v[16:17], v[18:19], v[16:17]
	v_add_f64 v[14:15], v[20:21], v[22:23]
	;; [unrolled: 1-line block ×3, first 2 shown]
	v_add_f64 v[18:19], v[22:23], -v[20:21]
	v_mul_f64 v[80:81], v[70:71], s[2:3]
	v_mul_f64 v[82:83], v[74:75], s[2:3]
	v_add_f64 v[2:3], v[68:69], -v[12:13]
	v_add_f64 v[22:23], v[64:65], -v[16:17]
	;; [unrolled: 1-line block ×3, first 2 shown]
	v_add_f64 v[10:11], v[14:15], v[10:11]
	v_add_f64 v[14:15], v[14:15], -v[62:63]
	v_add_f64 v[72:73], v[18:19], -v[4:5]
	v_add_f64 v[76:77], v[16:17], v[0:1]
	v_add_f64 v[16:17], v[16:17], -v[66:67]
	v_add_f64 v[78:79], v[8:9], -v[68:69]
	v_add_f64 v[12:13], v[68:69], v[12:13]
	v_add_f64 v[4:5], v[18:19], v[4:5]
	v_add_f64 v[18:19], v[6:7], -v[18:19]
	v_add_f64 v[60:61], v[62:63], -v[60:61]
	v_add_f64 v[64:65], v[66:67], -v[64:65]
	v_mul_f64 v[68:69], v[2:3], s[18:19]
	v_mul_f64 v[22:23], v[22:23], s[10:11]
	;; [unrolled: 1-line block ×3, first 2 shown]
	v_add_f64 v[2:3], v[162:163], v[10:11]
	v_mul_f64 v[62:63], v[14:15], s[8:9]
	v_mul_f64 v[72:73], v[72:73], s[18:19]
	v_add_f64 v[0:1], v[160:161], v[76:77]
	v_mul_f64 v[66:67], v[16:17], s[8:9]
	v_add_f64 v[8:9], v[12:13], v[8:9]
	v_add_f64 v[4:5], v[4:5], v[6:7]
	v_fma_f64 v[6:7], v[78:79], s[24:25], v[68:69]
	v_fma_f64 v[68:69], v[70:71], s[2:3], -v[68:69]
	v_fma_f64 v[12:13], v[14:15], s[8:9], v[20:21]
	v_fma_f64 v[14:15], v[16:17], s[8:9], v[22:23]
	v_fma_f64 v[16:17], v[78:79], s[26:27], -v[80:81]
	v_fma_f64 v[10:11], v[10:11], s[16:17], v[2:3]
	v_fma_f64 v[20:21], v[60:61], s[22:23], -v[20:21]
	v_fma_f64 v[60:61], v[60:61], s[20:21], -v[62:63]
	v_fma_f64 v[62:63], v[18:19], s[24:25], v[72:73]
	v_fma_f64 v[18:19], v[18:19], s[26:27], -v[82:83]
	v_fma_f64 v[70:71], v[74:75], s[2:3], -v[72:73]
	v_fma_f64 v[72:73], v[76:77], s[16:17], v[0:1]
	v_fma_f64 v[22:23], v[64:65], s[22:23], -v[22:23]
	v_fma_f64 v[64:65], v[64:65], s[20:21], -v[66:67]
	v_fma_f64 v[66:67], v[8:9], s[28:29], v[6:7]
	v_fma_f64 v[16:17], v[8:9], s[28:29], v[16:17]
	;; [unrolled: 1-line block ×3, first 2 shown]
	v_add_f64 v[12:13], v[12:13], v[10:11]
	v_add_f64 v[20:21], v[20:21], v[10:11]
	v_fma_f64 v[68:69], v[4:5], s[28:29], v[62:63]
	v_fma_f64 v[74:75], v[4:5], s[28:29], v[18:19]
	;; [unrolled: 1-line block ×3, first 2 shown]
	v_add_f64 v[60:61], v[60:61], v[10:11]
	v_add_f64 v[76:77], v[22:23], v[72:73]
	;; [unrolled: 1-line block ×4, first 2 shown]
	v_mov_b32_e32 v72, 0x5b
	v_add_f64 v[6:7], v[66:67], v[12:13]
	v_add_f64 v[10:11], v[16:17], v[20:21]
	v_add_f64 v[22:23], v[20:21], -v[16:17]
	v_add_f64 v[62:63], v[12:13], -v[66:67]
	;; [unrolled: 1-line block ×3, first 2 shown]
	v_add_f64 v[18:19], v[8:9], v[60:61]
	v_add_f64 v[16:17], v[64:65], -v[4:5]
	v_add_f64 v[12:13], v[4:5], v[64:65]
	s_clause 0x1
	buffer_load_dword v64, off, s[48:51], 0 offset:32
	buffer_load_dword v65, off, s[48:51], 0 offset:36
	v_add_f64 v[60:61], v[68:69], v[70:71]
	v_add_f64 v[20:21], v[74:75], v[76:77]
	v_add_f64 v[8:9], v[76:77], -v[74:75]
	v_add_f64 v[4:5], v[70:71], -v[68:69]
	s_waitcnt vmcnt(1)
	v_mul_u32_u24_sdwa v64, v64, v72 dst_sel:DWORD dst_unused:UNUSED_PAD src0_sel:WORD_0 src1_sel:DWORD
	s_waitcnt vmcnt(0)
	v_add_nc_u32_sdwa v64, v64, v65 dst_sel:DWORD dst_unused:UNUSED_PAD src0_sel:DWORD src1_sel:BYTE_0
	buffer_load_dword v65, off, s[48:51], 0 offset:28 ; 4-byte Folded Reload
	s_waitcnt vmcnt(0)
	v_lshl_add_u32 v64, v64, 4, v65
	ds_write_b128 v64, v[0:3]
	ds_write_b128 v64, v[60:63] offset:208
	ds_write_b128 v64, v[20:23] offset:416
	;; [unrolled: 1-line block ×6, first 2 shown]
.LBB0_21:
	s_or_b32 exec_lo, exec_lo, s1
	s_waitcnt lgkmcnt(0)
	s_barrier
	buffer_gl0_inv
	ds_read_b128 v[4:7], v168 offset:1456
	ds_read_b128 v[0:3], v168
	ds_read_b128 v[8:11], v168 offset:2912
	ds_read_b128 v[12:15], v168 offset:4368
	;; [unrolled: 1-line block ×9, first 2 shown]
	s_mov_b32 s2, 0xf8bb580b
	s_mov_b32 s8, 0x8764f0ba
	;; [unrolled: 1-line block ×9, first 2 shown]
	s_waitcnt lgkmcnt(10)
	v_mul_f64 v[80:81], v[54:55], v[6:7]
	v_mul_f64 v[54:55], v[54:55], v[4:5]
	s_waitcnt lgkmcnt(8)
	v_mul_f64 v[88:89], v[50:51], v[10:11]
	v_mul_f64 v[50:51], v[50:51], v[8:9]
	;; [unrolled: 3-line block ×3, first 2 shown]
	s_mov_b32 s18, 0xd9c712b6
	s_waitcnt lgkmcnt(3)
	v_mul_f64 v[94:95], v[38:39], v[66:67]
	s_waitcnt lgkmcnt(2)
	v_mul_f64 v[90:91], v[46:47], v[70:71]
	v_mul_f64 v[46:47], v[46:47], v[68:69]
	s_waitcnt lgkmcnt(0)
	v_mul_f64 v[82:83], v[86:87], v[76:77]
	v_mul_f64 v[38:39], v[38:39], v[64:65]
	s_mov_b32 s24, 0xbb3a28a1
	s_mov_b32 s28, 0x7f775887
	;; [unrolled: 1-line block ×10, first 2 shown]
	v_fma_f64 v[80:81], v[52:53], v[4:5], v[80:81]
	v_fma_f64 v[52:53], v[52:53], v[6:7], -v[54:55]
	v_mul_f64 v[6:7], v[86:87], v[78:79]
	v_mul_f64 v[86:87], v[42:43], v[14:15]
	;; [unrolled: 1-line block ×3, first 2 shown]
	v_fma_f64 v[8:9], v[48:49], v[8:9], v[88:89]
	v_fma_f64 v[10:11], v[48:49], v[10:11], -v[50:51]
	v_mul_f64 v[54:55], v[58:59], v[74:75]
	v_mul_f64 v[58:59], v[58:59], v[72:73]
	v_fma_f64 v[16:17], v[32:33], v[16:17], v[92:93]
	v_fma_f64 v[4:5], v[84:85], v[78:79], -v[82:83]
	v_mul_f64 v[78:79], v[30:31], v[22:23]
	v_mul_f64 v[30:31], v[30:31], v[20:21]
	;; [unrolled: 1-line block ×4, first 2 shown]
	v_fma_f64 v[18:19], v[32:33], v[18:19], -v[34:35]
	v_fma_f64 v[32:33], v[36:37], v[64:65], v[94:95]
	v_fma_f64 v[34:35], v[36:37], v[66:67], -v[38:39]
	s_mov_b32 s37, 0xbfeeb42a
	s_mov_b32 s0, s2
	;; [unrolled: 1-line block ×4, first 2 shown]
	v_add_f64 v[48:49], v[0:1], v[80:81]
	v_add_f64 v[50:51], v[2:3], v[52:53]
	v_fma_f64 v[6:7], v[84:85], v[76:77], v[6:7]
	v_fma_f64 v[12:13], v[40:41], v[12:13], v[86:87]
	v_fma_f64 v[14:15], v[40:41], v[14:15], -v[42:43]
	v_fma_f64 v[40:41], v[44:45], v[68:69], v[90:91]
	v_fma_f64 v[42:43], v[44:45], v[70:71], -v[46:47]
	;; [unrolled: 2-line block ×3, first 2 shown]
	s_mov_b32 s26, s20
	v_add_f64 v[36:37], v[52:53], -v[4:5]
	v_add_f64 v[38:39], v[52:53], v[4:5]
	v_fma_f64 v[20:21], v[28:29], v[20:21], v[78:79]
	v_fma_f64 v[22:23], v[28:29], v[22:23], -v[30:31]
	v_fma_f64 v[28:29], v[24:25], v[60:61], v[82:83]
	v_fma_f64 v[24:25], v[24:25], v[62:63], -v[26:27]
	s_mov_b32 s38, s30
	s_mov_b32 s17, 0x3fed1bb4
	;; [unrolled: 1-line block ×5, first 2 shown]
	v_add_f64 v[66:67], v[18:19], v[34:35]
	v_add_f64 v[44:45], v[48:49], v[8:9]
	;; [unrolled: 1-line block ×4, first 2 shown]
	v_add_f64 v[30:31], v[80:81], -v[6:7]
	v_add_f64 v[68:69], v[18:19], -v[34:35]
	v_add_f64 v[52:53], v[12:13], v[40:41]
	v_add_f64 v[60:61], v[12:13], -v[40:41]
	v_add_f64 v[58:59], v[14:15], v[42:43]
	v_add_f64 v[62:63], v[14:15], -v[42:43]
	v_add_f64 v[50:51], v[10:11], -v[56:57]
	v_add_f64 v[10:11], v[10:11], v[56:57]
	v_mul_f64 v[70:71], v[36:37], s[2:3]
	v_mul_f64 v[72:73], v[38:39], s[8:9]
	v_add_f64 v[48:49], v[8:9], v[54:55]
	v_add_f64 v[8:9], v[8:9], -v[54:55]
	v_mul_f64 v[74:75], v[36:37], s[10:11]
	v_mul_f64 v[76:77], v[38:39], s[18:19]
	;; [unrolled: 1-line block ×4, first 2 shown]
	v_add_f64 v[64:65], v[16:17], v[32:33]
	v_add_f64 v[12:13], v[44:45], v[12:13]
	;; [unrolled: 1-line block ×3, first 2 shown]
	v_mul_f64 v[44:45], v[36:37], s[20:21]
	v_mul_f64 v[46:47], v[38:39], s[22:23]
	;; [unrolled: 1-line block ×8, first 2 shown]
	v_fma_f64 v[112:113], v[26:27], s[8:9], v[70:71]
	v_fma_f64 v[114:115], v[30:31], s[0:1], v[72:73]
	v_mul_f64 v[90:91], v[50:51], s[38:39]
	v_mul_f64 v[92:93], v[10:11], s[36:37]
	v_mul_f64 v[86:87], v[50:51], s[24:25]
	v_mul_f64 v[88:89], v[10:11], s[28:29]
	v_mul_f64 v[94:95], v[50:51], s[26:27]
	v_mul_f64 v[96:97], v[10:11], s[22:23]
	v_mul_f64 v[50:51], v[50:51], s[0:1]
	v_mul_f64 v[10:11], v[10:11], s[8:9]
	v_fma_f64 v[70:71], v[26:27], s[8:9], -v[70:71]
	v_add_f64 v[12:13], v[12:13], v[16:17]
	v_add_f64 v[14:15], v[14:15], v[18:19]
	v_fma_f64 v[120:121], v[26:27], s[22:23], v[44:45]
	v_fma_f64 v[122:123], v[30:31], s[26:27], v[46:47]
	v_fma_f64 v[44:45], v[26:27], s[22:23], -v[44:45]
	v_fma_f64 v[46:47], v[30:31], s[20:21], v[46:47]
	v_fma_f64 v[72:73], v[30:31], s[2:3], v[72:73]
	;; [unrolled: 1-line block ×4, first 2 shown]
	v_fma_f64 v[74:75], v[26:27], s[18:19], -v[74:75]
	v_fma_f64 v[76:77], v[30:31], s[10:11], v[76:77]
	v_fma_f64 v[124:125], v[26:27], s[28:29], v[78:79]
	v_fma_f64 v[126:127], v[30:31], s[34:35], v[80:81]
	v_fma_f64 v[78:79], v[26:27], s[28:29], -v[78:79]
	v_fma_f64 v[80:81], v[30:31], s[24:25], v[80:81]
	v_fma_f64 v[128:129], v[26:27], s[36:37], v[36:37]
	v_fma_f64 v[130:131], v[30:31], s[38:39], v[38:39]
	v_fma_f64 v[26:27], v[26:27], s[36:37], -v[36:37]
	v_fma_f64 v[30:31], v[30:31], s[30:31], v[38:39]
	v_fma_f64 v[36:37], v[48:49], s[18:19], v[82:83]
	v_fma_f64 v[38:39], v[8:9], s[16:17], v[84:85]
	v_add_f64 v[112:113], v[0:1], v[112:113]
	v_add_f64 v[12:13], v[12:13], v[20:21]
	;; [unrolled: 1-line block ×4, first 2 shown]
	v_mul_f64 v[18:19], v[62:63], s[16:17]
	v_mul_f64 v[106:107], v[58:59], s[18:19]
	v_fma_f64 v[136:137], v[48:49], s[36:37], v[90:91]
	v_fma_f64 v[138:139], v[8:9], s[30:31], v[92:93]
	v_fma_f64 v[90:91], v[48:49], s[36:37], -v[90:91]
	v_fma_f64 v[92:93], v[8:9], s[38:39], v[92:93]
	v_add_f64 v[44:45], v[0:1], v[44:45]
	v_add_f64 v[46:47], v[2:3], v[46:47]
	v_mul_f64 v[108:109], v[62:63], s[2:3]
	v_fma_f64 v[82:83], v[48:49], s[18:19], -v[82:83]
	v_fma_f64 v[84:85], v[8:9], s[10:11], v[84:85]
	v_fma_f64 v[132:133], v[48:49], s[28:29], v[86:87]
	;; [unrolled: 1-line block ×3, first 2 shown]
	v_fma_f64 v[86:87], v[48:49], s[28:29], -v[86:87]
	v_fma_f64 v[88:89], v[8:9], s[24:25], v[88:89]
	v_fma_f64 v[140:141], v[48:49], s[22:23], v[94:95]
	;; [unrolled: 1-line block ×3, first 2 shown]
	v_fma_f64 v[94:95], v[48:49], s[22:23], -v[94:95]
	v_fma_f64 v[96:97], v[8:9], s[26:27], v[96:97]
	v_add_f64 v[12:13], v[12:13], v[28:29]
	v_add_f64 v[14:15], v[14:15], v[24:25]
	v_fma_f64 v[144:145], v[48:49], s[8:9], v[50:51]
	v_fma_f64 v[146:147], v[8:9], s[2:3], v[10:11]
	v_fma_f64 v[48:49], v[48:49], s[8:9], -v[50:51]
	v_fma_f64 v[8:9], v[8:9], s[0:1], v[10:11]
	v_fma_f64 v[10:11], v[52:53], s[22:23], v[98:99]
	;; [unrolled: 1-line block ×3, first 2 shown]
	v_add_f64 v[74:75], v[0:1], v[74:75]
	v_add_f64 v[76:77], v[2:3], v[76:77]
	v_add_f64 v[78:79], v[0:1], v[78:79]
	v_add_f64 v[80:81], v[2:3], v[80:81]
	v_mul_f64 v[102:103], v[62:63], s[38:39]
	v_mul_f64 v[110:111], v[58:59], s[8:9]
	;; [unrolled: 1-line block ×4, first 2 shown]
	v_fma_f64 v[152:153], v[52:53], s[18:19], v[18:19]
	v_fma_f64 v[154:155], v[60:61], s[10:11], v[106:107]
	v_fma_f64 v[18:19], v[52:53], s[18:19], -v[18:19]
	v_fma_f64 v[106:107], v[60:61], s[16:17], v[106:107]
	v_add_f64 v[44:45], v[90:91], v[44:45]
	v_add_f64 v[46:47], v[92:93], v[46:47]
	;; [unrolled: 1-line block ×18, first 2 shown]
	v_mul_f64 v[58:59], v[58:59], s[28:29]
	v_fma_f64 v[100:101], v[60:61], s[20:21], v[100:101]
	v_add_f64 v[16:17], v[16:17], -v[32:33]
	v_fma_f64 v[32:33], v[52:53], s[8:9], v[108:109]
	v_fma_f64 v[98:99], v[52:53], s[22:23], -v[98:99]
	v_fma_f64 v[148:149], v[52:53], s[36:37], v[102:103]
	v_add_f64 v[12:13], v[12:13], v[40:41]
	v_add_f64 v[14:15], v[14:15], v[42:43]
	;; [unrolled: 1-line block ×6, first 2 shown]
	v_fma_f64 v[150:151], v[60:61], s[30:31], v[104:105]
	v_fma_f64 v[102:103], v[52:53], s[36:37], -v[102:103]
	v_add_f64 v[76:77], v[140:141], v[122:123]
	v_add_f64 v[82:83], v[142:143], v[124:125]
	;; [unrolled: 1-line block ×8, first 2 shown]
	v_mul_f64 v[30:31], v[66:67], s[28:29]
	v_mul_f64 v[26:27], v[68:69], s[24:25]
	v_fma_f64 v[48:49], v[60:61], s[0:1], v[110:111]
	v_mul_f64 v[50:51], v[68:69], s[26:27]
	v_fma_f64 v[104:105], v[60:61], s[38:39], v[104:105]
	v_add_f64 v[78:79], v[94:95], v[78:79]
	v_add_f64 v[12:13], v[12:13], v[54:55]
	v_mul_f64 v[54:55], v[66:67], s[22:23]
	v_add_f64 v[80:81], v[96:97], v[80:81]
	v_add_f64 v[14:15], v[14:15], v[56:57]
	v_fma_f64 v[56:57], v[52:53], s[8:9], -v[108:109]
	v_fma_f64 v[88:89], v[60:61], s[2:3], v[110:111]
	v_add_f64 v[18:19], v[18:19], v[44:45]
	v_add_f64 v[44:45], v[106:107], v[46:47]
	v_fma_f64 v[46:47], v[52:53], s[28:29], -v[62:63]
	v_add_f64 v[72:73], v[136:137], v[118:119]
	v_fma_f64 v[90:91], v[52:53], s[28:29], v[62:63]
	v_mul_f64 v[62:63], v[68:69], s[2:3]
	v_add_f64 v[74:75], v[138:139], v[120:121]
	v_add_f64 v[36:37], v[100:101], v[36:37]
	v_fma_f64 v[92:93], v[60:61], s[34:35], v[58:59]
	v_fma_f64 v[52:53], v[60:61], s[24:25], v[58:59]
	;; [unrolled: 1-line block ×3, first 2 shown]
	v_add_f64 v[32:33], v[32:33], v[76:77]
	v_fma_f64 v[30:31], v[16:17], s[24:25], v[30:31]
	v_mul_f64 v[76:77], v[66:67], s[8:9]
	v_add_f64 v[34:35], v[98:99], v[34:35]
	v_add_f64 v[38:39], v[148:149], v[38:39]
	v_fma_f64 v[58:59], v[64:65], s[28:29], v[26:27]
	v_add_f64 v[48:49], v[48:49], v[82:83]
	v_fma_f64 v[26:27], v[64:65], s[28:29], -v[26:27]
	v_fma_f64 v[82:83], v[64:65], s[22:23], v[50:51]
	v_add_f64 v[40:41], v[150:151], v[40:41]
	v_add_f64 v[42:43], v[102:103], v[42:43]
	v_fma_f64 v[94:95], v[16:17], s[20:21], v[54:55]
	v_fma_f64 v[50:51], v[64:65], s[22:23], -v[50:51]
	v_add_f64 v[70:71], v[104:105], v[70:71]
	v_add_f64 v[56:57], v[56:57], v[78:79]
	v_fma_f64 v[54:55], v[16:17], s[26:27], v[54:55]
	v_add_f64 v[78:79], v[88:89], v[80:81]
	v_mul_f64 v[80:81], v[68:69], s[30:31]
	v_mul_f64 v[88:89], v[66:67], s[36:37]
	;; [unrolled: 1-line block ×4, first 2 shown]
	v_add_f64 v[0:1], v[46:47], v[0:1]
	v_add_f64 v[46:47], v[22:23], -v[24:25]
	v_add_f64 v[22:23], v[22:23], v[24:25]
	v_add_f64 v[84:85], v[144:145], v[126:127]
	;; [unrolled: 1-line block ×4, first 2 shown]
	v_fma_f64 v[24:25], v[64:65], s[8:9], v[62:63]
	v_add_f64 v[74:75], v[154:155], v[74:75]
	v_add_f64 v[2:3], v[52:53], v[2:3]
	;; [unrolled: 1-line block ×3, first 2 shown]
	v_fma_f64 v[30:31], v[16:17], s[0:1], v[76:77]
	v_add_f64 v[26:27], v[26:27], v[34:35]
	v_add_f64 v[34:35], v[82:83], v[38:39]
	v_fma_f64 v[38:39], v[64:65], s[8:9], -v[62:63]
	v_add_f64 v[36:37], v[94:95], v[40:41]
	v_add_f64 v[40:41], v[50:51], v[42:43]
	v_fma_f64 v[42:43], v[16:17], s[2:3], v[76:77]
	v_add_f64 v[8:9], v[58:59], v[8:9]
	v_add_f64 v[10:11], v[60:61], v[10:11]
	;; [unrolled: 1-line block ×3, first 2 shown]
	v_fma_f64 v[54:55], v[64:65], s[36:37], v[80:81]
	v_fma_f64 v[58:59], v[16:17], s[38:39], v[88:89]
	v_fma_f64 v[60:61], v[64:65], s[36:37], -v[80:81]
	v_fma_f64 v[62:63], v[16:17], s[30:31], v[88:89]
	v_fma_f64 v[70:71], v[64:65], s[18:19], v[68:69]
	;; [unrolled: 1-line block ×3, first 2 shown]
	v_fma_f64 v[64:65], v[64:65], s[18:19], -v[68:69]
	v_fma_f64 v[16:17], v[16:17], s[16:17], v[66:67]
	v_add_f64 v[66:67], v[20:21], v[28:29]
	v_add_f64 v[20:21], v[20:21], -v[28:29]
	v_mul_f64 v[28:29], v[46:47], s[30:31]
	v_mul_f64 v[68:69], v[22:23], s[36:37]
	v_add_f64 v[84:85], v[90:91], v[84:85]
	v_add_f64 v[86:87], v[92:93], v[86:87]
	;; [unrolled: 1-line block ×3, first 2 shown]
	v_mul_f64 v[72:73], v[46:47], s[0:1]
	v_mul_f64 v[80:81], v[22:23], s[8:9]
	v_add_f64 v[30:31], v[30:31], v[74:75]
	v_mul_f64 v[74:75], v[46:47], s[24:25]
	v_mul_f64 v[82:83], v[22:23], s[28:29]
	v_add_f64 v[18:19], v[38:39], v[18:19]
	;; [unrolled: 3-line block ×4, first 2 shown]
	v_add_f64 v[46:47], v[58:59], v[48:49]
	v_add_f64 v[48:49], v[60:61], v[56:57]
	;; [unrolled: 1-line block ×5, first 2 shown]
	v_fma_f64 v[16:17], v[66:67], s[36:37], v[28:29]
	v_fma_f64 v[64:65], v[20:21], s[38:39], v[68:69]
	v_add_f64 v[56:57], v[70:71], v[84:85]
	v_add_f64 v[58:59], v[76:77], v[86:87]
	v_fma_f64 v[28:29], v[66:67], s[36:37], -v[28:29]
	v_fma_f64 v[70:71], v[66:67], s[8:9], v[72:73]
	v_fma_f64 v[76:77], v[20:21], s[2:3], v[80:81]
	v_fma_f64 v[72:73], v[66:67], s[8:9], -v[72:73]
	v_fma_f64 v[78:79], v[66:67], s[28:29], v[74:75]
	v_fma_f64 v[84:85], v[20:21], s[34:35], v[82:83]
	;; [unrolled: 3-line block ×5, first 2 shown]
	v_fma_f64 v[82:83], v[20:21], s[24:25], v[82:83]
	v_fma_f64 v[80:81], v[20:21], s[0:1], v[80:81]
	;; [unrolled: 1-line block ×3, first 2 shown]
	v_add_f64 v[0:1], v[12:13], v[6:7]
	v_add_f64 v[2:3], v[14:15], v[4:5]
	;; [unrolled: 1-line block ×22, first 2 shown]
	ds_write_b128 v255, v[0:3]
	ds_write_b128 v255, v[4:7] offset:1456
	ds_write_b128 v255, v[12:15] offset:2912
	;; [unrolled: 1-line block ×10, first 2 shown]
	s_waitcnt lgkmcnt(0)
	s_barrier
	buffer_gl0_inv
	s_and_b32 exec_lo, exec_lo, vcc_lo
	s_cbranch_execz .LBB0_23
; %bb.22:
	buffer_load_dword v6, off, s[48:51], 0 offset:24 ; 4-byte Folded Reload
	s_mul_hi_u32 s1, s4, 0x4d0
	s_mul_i32 s2, s4, 0x4d0
	s_waitcnt vmcnt(0)
	v_add_co_u32 v0, s0, s14, v6
	v_add_co_ci_u32_e64 v1, null, s15, 0, s0
	s_clause 0x1
	global_load_dwordx4 v[2:5], v6, s[14:15]
	global_load_dwordx4 v[6:9], v6, s[14:15] offset:1232
	v_add_co_u32 v14, vcc_lo, 0x800, v0
	v_add_co_ci_u32_e32 v15, vcc_lo, 0, v1, vcc_lo
	v_add_co_u32 v18, vcc_lo, 0x1000, v0
	v_add_co_ci_u32_e32 v19, vcc_lo, 0, v1, vcc_lo
	;; [unrolled: 2-line block ×6, first 2 shown]
	s_clause 0x9
	global_load_dwordx4 v[10:13], v[14:15], off offset:416
	global_load_dwordx4 v[14:17], v[14:15], off offset:1648
	;; [unrolled: 1-line block ×10, first 2 shown]
	s_clause 0x2
	buffer_load_dword v50, off, s[48:51], 0
	buffer_load_dword v51, off, s[48:51], 0 offset:4
	buffer_load_dword v56, off, s[48:51], 0 offset:44
	s_mul_i32 s0, s5, 0x4d0
	s_add_i32 s3, s1, s0
	s_mov_b32 s0, 0x27a3ee9c
	s_mov_b32 s1, 0x3f505e1d
	s_waitcnt vmcnt(2)
	v_mov_b32_e32 v54, v50
	s_waitcnt vmcnt(0)
	v_mad_u64_u32 v[52:53], null, s4, v56, 0
	v_mad_u64_u32 v[50:51], null, s6, v54, 0
	;; [unrolled: 1-line block ×4, first 2 shown]
	v_mov_b32_e32 v51, v54
	v_lshlrev_b64 v[50:51], 4, v[50:51]
	v_mov_b32_e32 v53, v55
	v_lshlrev_b64 v[52:53], 4, v[52:53]
	v_add_co_u32 v50, vcc_lo, s12, v50
	v_add_co_ci_u32_e32 v51, vcc_lo, s13, v51, vcc_lo
	v_add_co_u32 v98, vcc_lo, v50, v52
	v_add_co_ci_u32_e32 v99, vcc_lo, v51, v53, vcc_lo
	ds_read_b128 v[50:53], v255
	ds_read_b128 v[54:57], v255 offset:1232
	ds_read_b128 v[58:61], v255 offset:2464
	;; [unrolled: 1-line block ×11, first 2 shown]
	v_add_co_u32 v100, vcc_lo, v98, s2
	v_add_co_ci_u32_e32 v101, vcc_lo, s3, v99, vcc_lo
	v_add_co_u32 v102, vcc_lo, v100, s2
	v_add_co_ci_u32_e32 v103, vcc_lo, s3, v101, vcc_lo
	;; [unrolled: 2-line block ×3, first 2 shown]
	s_waitcnt lgkmcnt(11)
	v_mul_f64 v[118:119], v[52:53], v[4:5]
	v_mul_f64 v[4:5], v[50:51], v[4:5]
	s_waitcnt lgkmcnt(10)
	v_mul_f64 v[120:121], v[56:57], v[8:9]
	v_mul_f64 v[8:9], v[54:55], v[8:9]
	;; [unrolled: 3-line block ×12, first 2 shown]
	v_fma_f64 v[50:51], v[50:51], v[2:3], v[118:119]
	v_fma_f64 v[4:5], v[2:3], v[52:53], -v[4:5]
	v_fma_f64 v[52:53], v[54:55], v[6:7], v[120:121]
	v_fma_f64 v[8:9], v[6:7], v[56:57], -v[8:9]
	;; [unrolled: 2-line block ×5, first 2 shown]
	v_add_co_u32 v106, vcc_lo, v104, s2
	v_fma_f64 v[60:61], v[70:71], v[22:23], v[128:129]
	v_fma_f64 v[24:25], v[22:23], v[72:73], -v[24:25]
	v_fma_f64 v[62:63], v[74:75], v[26:27], v[130:131]
	v_fma_f64 v[28:29], v[26:27], v[76:77], -v[28:29]
	v_add_co_ci_u32_e32 v107, vcc_lo, s3, v105, vcc_lo
	v_fma_f64 v[64:65], v[78:79], v[30:31], v[132:133]
	v_fma_f64 v[32:33], v[30:31], v[80:81], -v[32:33]
	v_fma_f64 v[66:67], v[82:83], v[34:35], v[134:135]
	v_fma_f64 v[36:37], v[34:35], v[84:85], -v[36:37]
	;; [unrolled: 2-line block ×3, first 2 shown]
	v_add_co_u32 v108, vcc_lo, v106, s2
	v_fma_f64 v[70:71], v[90:91], v[42:43], v[138:139]
	v_fma_f64 v[44:45], v[42:43], v[92:93], -v[44:45]
	v_fma_f64 v[72:73], v[94:95], v[46:47], v[140:141]
	v_fma_f64 v[48:49], v[46:47], v[96:97], -v[48:49]
	v_add_co_ci_u32_e32 v109, vcc_lo, s3, v107, vcc_lo
	v_add_co_u32 v110, vcc_lo, v108, s2
	v_mul_f64 v[2:3], v[50:51], s[0:1]
	v_add_co_ci_u32_e32 v111, vcc_lo, s3, v109, vcc_lo
	v_add_co_u32 v112, vcc_lo, v110, s2
	v_mul_f64 v[4:5], v[4:5], s[0:1]
	v_add_co_ci_u32_e32 v113, vcc_lo, s3, v111, vcc_lo
	v_mul_f64 v[6:7], v[52:53], s[0:1]
	v_mul_f64 v[8:9], v[8:9], s[0:1]
	;; [unrolled: 1-line block ×4, first 2 shown]
	v_add_co_u32 v114, vcc_lo, v112, s2
	v_mul_f64 v[14:15], v[56:57], s[0:1]
	v_mul_f64 v[16:17], v[16:17], s[0:1]
	;; [unrolled: 1-line block ×4, first 2 shown]
	v_add_co_ci_u32_e32 v115, vcc_lo, s3, v113, vcc_lo
	v_mul_f64 v[22:23], v[60:61], s[0:1]
	v_mul_f64 v[24:25], v[24:25], s[0:1]
	;; [unrolled: 1-line block ×6, first 2 shown]
	v_add_co_u32 v116, vcc_lo, v114, s2
	v_mul_f64 v[34:35], v[66:67], s[0:1]
	v_mul_f64 v[36:37], v[36:37], s[0:1]
	;; [unrolled: 1-line block ×4, first 2 shown]
	v_add_co_ci_u32_e32 v117, vcc_lo, s3, v115, vcc_lo
	v_mul_f64 v[42:43], v[70:71], s[0:1]
	v_mul_f64 v[44:45], v[44:45], s[0:1]
	;; [unrolled: 1-line block ×4, first 2 shown]
	v_add_co_u32 v50, vcc_lo, v116, s2
	v_add_co_ci_u32_e32 v51, vcc_lo, s3, v117, vcc_lo
	v_add_co_u32 v0, vcc_lo, 0x3800, v0
	v_add_co_ci_u32_e32 v1, vcc_lo, 0, v1, vcc_lo
	;; [unrolled: 2-line block ×3, first 2 shown]
	global_store_dwordx4 v[98:99], v[2:5], off
	global_store_dwordx4 v[100:101], v[6:9], off
	;; [unrolled: 1-line block ×12, first 2 shown]
	global_load_dwordx4 v[0:3], v[0:1], off offset:448
	ds_read_b128 v[4:7], v255 offset:14784
	s_waitcnt vmcnt(0) lgkmcnt(0)
	v_mul_f64 v[8:9], v[6:7], v[2:3]
	v_mul_f64 v[2:3], v[4:5], v[2:3]
	v_fma_f64 v[4:5], v[4:5], v[0:1], v[8:9]
	v_fma_f64 v[2:3], v[0:1], v[6:7], -v[2:3]
	v_mul_f64 v[0:1], v[4:5], s[0:1]
	v_mul_f64 v[2:3], v[2:3], s[0:1]
	v_add_co_u32 v4, vcc_lo, v52, s2
	v_add_co_ci_u32_e32 v5, vcc_lo, s3, v53, vcc_lo
	global_store_dwordx4 v[4:5], v[0:3], off
.LBB0_23:
	s_endpgm
	.section	.rodata,"a",@progbits
	.p2align	6, 0x0
	.amdhsa_kernel bluestein_single_fwd_len1001_dim1_dp_op_CI_CI
		.amdhsa_group_segment_fixed_size 32032
		.amdhsa_private_segment_fixed_size 384
		.amdhsa_kernarg_size 104
		.amdhsa_user_sgpr_count 6
		.amdhsa_user_sgpr_private_segment_buffer 1
		.amdhsa_user_sgpr_dispatch_ptr 0
		.amdhsa_user_sgpr_queue_ptr 0
		.amdhsa_user_sgpr_kernarg_segment_ptr 1
		.amdhsa_user_sgpr_dispatch_id 0
		.amdhsa_user_sgpr_flat_scratch_init 0
		.amdhsa_user_sgpr_private_segment_size 0
		.amdhsa_wavefront_size32 1
		.amdhsa_uses_dynamic_stack 0
		.amdhsa_system_sgpr_private_segment_wavefront_offset 1
		.amdhsa_system_sgpr_workgroup_id_x 1
		.amdhsa_system_sgpr_workgroup_id_y 0
		.amdhsa_system_sgpr_workgroup_id_z 0
		.amdhsa_system_sgpr_workgroup_info 0
		.amdhsa_system_vgpr_workitem_id 0
		.amdhsa_next_free_vgpr 256
		.amdhsa_next_free_sgpr 52
		.amdhsa_reserve_vcc 1
		.amdhsa_reserve_flat_scratch 0
		.amdhsa_float_round_mode_32 0
		.amdhsa_float_round_mode_16_64 0
		.amdhsa_float_denorm_mode_32 3
		.amdhsa_float_denorm_mode_16_64 3
		.amdhsa_dx10_clamp 1
		.amdhsa_ieee_mode 1
		.amdhsa_fp16_overflow 0
		.amdhsa_workgroup_processor_mode 1
		.amdhsa_memory_ordered 1
		.amdhsa_forward_progress 0
		.amdhsa_shared_vgpr_count 0
		.amdhsa_exception_fp_ieee_invalid_op 0
		.amdhsa_exception_fp_denorm_src 0
		.amdhsa_exception_fp_ieee_div_zero 0
		.amdhsa_exception_fp_ieee_overflow 0
		.amdhsa_exception_fp_ieee_underflow 0
		.amdhsa_exception_fp_ieee_inexact 0
		.amdhsa_exception_int_div_zero 0
	.end_amdhsa_kernel
	.text
.Lfunc_end0:
	.size	bluestein_single_fwd_len1001_dim1_dp_op_CI_CI, .Lfunc_end0-bluestein_single_fwd_len1001_dim1_dp_op_CI_CI
                                        ; -- End function
	.section	.AMDGPU.csdata,"",@progbits
; Kernel info:
; codeLenInByte = 25524
; NumSgprs: 54
; NumVgprs: 256
; ScratchSize: 384
; MemoryBound: 0
; FloatMode: 240
; IeeeMode: 1
; LDSByteSize: 32032 bytes/workgroup (compile time only)
; SGPRBlocks: 6
; VGPRBlocks: 31
; NumSGPRsForWavesPerEU: 54
; NumVGPRsForWavesPerEU: 256
; Occupancy: 4
; WaveLimiterHint : 1
; COMPUTE_PGM_RSRC2:SCRATCH_EN: 1
; COMPUTE_PGM_RSRC2:USER_SGPR: 6
; COMPUTE_PGM_RSRC2:TRAP_HANDLER: 0
; COMPUTE_PGM_RSRC2:TGID_X_EN: 1
; COMPUTE_PGM_RSRC2:TGID_Y_EN: 0
; COMPUTE_PGM_RSRC2:TGID_Z_EN: 0
; COMPUTE_PGM_RSRC2:TIDIG_COMP_CNT: 0
	.text
	.p2alignl 6, 3214868480
	.fill 48, 4, 3214868480
	.type	__hip_cuid_dd65f5abf1b5ac65,@object ; @__hip_cuid_dd65f5abf1b5ac65
	.section	.bss,"aw",@nobits
	.globl	__hip_cuid_dd65f5abf1b5ac65
__hip_cuid_dd65f5abf1b5ac65:
	.byte	0                               ; 0x0
	.size	__hip_cuid_dd65f5abf1b5ac65, 1

	.ident	"AMD clang version 19.0.0git (https://github.com/RadeonOpenCompute/llvm-project roc-6.4.0 25133 c7fe45cf4b819c5991fe208aaa96edf142730f1d)"
	.section	".note.GNU-stack","",@progbits
	.addrsig
	.addrsig_sym __hip_cuid_dd65f5abf1b5ac65
	.amdgpu_metadata
---
amdhsa.kernels:
  - .args:
      - .actual_access:  read_only
        .address_space:  global
        .offset:         0
        .size:           8
        .value_kind:     global_buffer
      - .actual_access:  read_only
        .address_space:  global
        .offset:         8
        .size:           8
        .value_kind:     global_buffer
      - .actual_access:  read_only
        .address_space:  global
        .offset:         16
        .size:           8
        .value_kind:     global_buffer
      - .actual_access:  read_only
        .address_space:  global
        .offset:         24
        .size:           8
        .value_kind:     global_buffer
      - .actual_access:  read_only
        .address_space:  global
        .offset:         32
        .size:           8
        .value_kind:     global_buffer
      - .offset:         40
        .size:           8
        .value_kind:     by_value
      - .address_space:  global
        .offset:         48
        .size:           8
        .value_kind:     global_buffer
      - .address_space:  global
        .offset:         56
        .size:           8
        .value_kind:     global_buffer
      - .address_space:  global
        .offset:         64
        .size:           8
        .value_kind:     global_buffer
      - .address_space:  global
        .offset:         72
        .size:           8
        .value_kind:     global_buffer
      - .offset:         80
        .size:           4
        .value_kind:     by_value
      - .address_space:  global
        .offset:         88
        .size:           8
        .value_kind:     global_buffer
      - .address_space:  global
        .offset:         96
        .size:           8
        .value_kind:     global_buffer
    .group_segment_fixed_size: 32032
    .kernarg_segment_align: 8
    .kernarg_segment_size: 104
    .language:       OpenCL C
    .language_version:
      - 2
      - 0
    .max_flat_workgroup_size: 182
    .name:           bluestein_single_fwd_len1001_dim1_dp_op_CI_CI
    .private_segment_fixed_size: 384
    .sgpr_count:     54
    .sgpr_spill_count: 0
    .symbol:         bluestein_single_fwd_len1001_dim1_dp_op_CI_CI.kd
    .uniform_work_group_size: 1
    .uses_dynamic_stack: false
    .vgpr_count:     256
    .vgpr_spill_count: 99
    .wavefront_size: 32
    .workgroup_processor_mode: 1
amdhsa.target:   amdgcn-amd-amdhsa--gfx1030
amdhsa.version:
  - 1
  - 2
...

	.end_amdgpu_metadata
